;; amdgpu-corpus repo=ROCm/rocFFT kind=compiled arch=gfx1100 opt=O3
	.text
	.amdgcn_target "amdgcn-amd-amdhsa--gfx1100"
	.amdhsa_code_object_version 6
	.protected	fft_rtc_back_len1960_factors_4_7_2_7_5_wgs_56_tpt_56_halfLds_sp_ip_CI_unitstride_sbrr_R2C_dirReg ; -- Begin function fft_rtc_back_len1960_factors_4_7_2_7_5_wgs_56_tpt_56_halfLds_sp_ip_CI_unitstride_sbrr_R2C_dirReg
	.globl	fft_rtc_back_len1960_factors_4_7_2_7_5_wgs_56_tpt_56_halfLds_sp_ip_CI_unitstride_sbrr_R2C_dirReg
	.p2align	8
	.type	fft_rtc_back_len1960_factors_4_7_2_7_5_wgs_56_tpt_56_halfLds_sp_ip_CI_unitstride_sbrr_R2C_dirReg,@function
fft_rtc_back_len1960_factors_4_7_2_7_5_wgs_56_tpt_56_halfLds_sp_ip_CI_unitstride_sbrr_R2C_dirReg: ; @fft_rtc_back_len1960_factors_4_7_2_7_5_wgs_56_tpt_56_halfLds_sp_ip_CI_unitstride_sbrr_R2C_dirReg
; %bb.0:
	s_clause 0x2
	s_load_b128 s[4:7], s[0:1], 0x0
	s_load_b64 s[8:9], s[0:1], 0x50
	s_load_b64 s[10:11], s[0:1], 0x18
	v_mul_u32_u24_e32 v1, 0x493, v0
	v_mov_b32_e32 v3, 0
	v_mov_b32_e32 v4, 0
	s_delay_alu instid0(VALU_DEP_3) | instskip(SKIP_1) | instid1(VALU_DEP_1)
	v_lshrrev_b32_e32 v2, 16, v1
	v_mov_b32_e32 v1, 0
	v_dual_mov_b32 v6, v1 :: v_dual_add_nc_u32 v5, s15, v2
	s_waitcnt lgkmcnt(0)
	v_cmp_lt_u64_e64 s2, s[6:7], 2
	s_delay_alu instid0(VALU_DEP_1)
	s_and_b32 vcc_lo, exec_lo, s2
	s_cbranch_vccnz .LBB0_8
; %bb.1:
	s_load_b64 s[2:3], s[0:1], 0x10
	v_mov_b32_e32 v3, 0
	s_add_u32 s12, s10, 8
	v_mov_b32_e32 v4, 0
	s_addc_u32 s13, s11, 0
	s_mov_b64 s[16:17], 1
	s_waitcnt lgkmcnt(0)
	s_add_u32 s14, s2, 8
	s_addc_u32 s15, s3, 0
.LBB0_2:                                ; =>This Inner Loop Header: Depth=1
	s_load_b64 s[18:19], s[14:15], 0x0
                                        ; implicit-def: $vgpr7_vgpr8
	s_mov_b32 s2, exec_lo
	s_waitcnt lgkmcnt(0)
	v_or_b32_e32 v2, s19, v6
	s_delay_alu instid0(VALU_DEP_1)
	v_cmpx_ne_u64_e32 0, v[1:2]
	s_xor_b32 s3, exec_lo, s2
	s_cbranch_execz .LBB0_4
; %bb.3:                                ;   in Loop: Header=BB0_2 Depth=1
	v_cvt_f32_u32_e32 v2, s18
	v_cvt_f32_u32_e32 v7, s19
	s_sub_u32 s2, 0, s18
	s_subb_u32 s20, 0, s19
	s_delay_alu instid0(VALU_DEP_1) | instskip(NEXT) | instid1(VALU_DEP_1)
	v_fmac_f32_e32 v2, 0x4f800000, v7
	v_rcp_f32_e32 v2, v2
	s_waitcnt_depctr 0xfff
	v_mul_f32_e32 v2, 0x5f7ffffc, v2
	s_delay_alu instid0(VALU_DEP_1) | instskip(NEXT) | instid1(VALU_DEP_1)
	v_mul_f32_e32 v7, 0x2f800000, v2
	v_trunc_f32_e32 v7, v7
	s_delay_alu instid0(VALU_DEP_1) | instskip(SKIP_1) | instid1(VALU_DEP_2)
	v_fmac_f32_e32 v2, 0xcf800000, v7
	v_cvt_u32_f32_e32 v7, v7
	v_cvt_u32_f32_e32 v2, v2
	s_delay_alu instid0(VALU_DEP_2) | instskip(NEXT) | instid1(VALU_DEP_2)
	v_mul_lo_u32 v8, s2, v7
	v_mul_hi_u32 v9, s2, v2
	v_mul_lo_u32 v10, s20, v2
	s_delay_alu instid0(VALU_DEP_2) | instskip(SKIP_1) | instid1(VALU_DEP_2)
	v_add_nc_u32_e32 v8, v9, v8
	v_mul_lo_u32 v9, s2, v2
	v_add_nc_u32_e32 v8, v8, v10
	s_delay_alu instid0(VALU_DEP_2) | instskip(NEXT) | instid1(VALU_DEP_2)
	v_mul_hi_u32 v10, v2, v9
	v_mul_lo_u32 v11, v2, v8
	v_mul_hi_u32 v12, v2, v8
	v_mul_hi_u32 v13, v7, v9
	v_mul_lo_u32 v9, v7, v9
	v_mul_hi_u32 v14, v7, v8
	v_mul_lo_u32 v8, v7, v8
	v_add_co_u32 v10, vcc_lo, v10, v11
	v_add_co_ci_u32_e32 v11, vcc_lo, 0, v12, vcc_lo
	s_delay_alu instid0(VALU_DEP_2) | instskip(NEXT) | instid1(VALU_DEP_2)
	v_add_co_u32 v9, vcc_lo, v10, v9
	v_add_co_ci_u32_e32 v9, vcc_lo, v11, v13, vcc_lo
	v_add_co_ci_u32_e32 v10, vcc_lo, 0, v14, vcc_lo
	s_delay_alu instid0(VALU_DEP_2) | instskip(NEXT) | instid1(VALU_DEP_2)
	v_add_co_u32 v8, vcc_lo, v9, v8
	v_add_co_ci_u32_e32 v9, vcc_lo, 0, v10, vcc_lo
	s_delay_alu instid0(VALU_DEP_2) | instskip(NEXT) | instid1(VALU_DEP_2)
	v_add_co_u32 v2, vcc_lo, v2, v8
	v_add_co_ci_u32_e32 v7, vcc_lo, v7, v9, vcc_lo
	s_delay_alu instid0(VALU_DEP_2) | instskip(SKIP_1) | instid1(VALU_DEP_3)
	v_mul_hi_u32 v8, s2, v2
	v_mul_lo_u32 v10, s20, v2
	v_mul_lo_u32 v9, s2, v7
	s_delay_alu instid0(VALU_DEP_1) | instskip(SKIP_1) | instid1(VALU_DEP_2)
	v_add_nc_u32_e32 v8, v8, v9
	v_mul_lo_u32 v9, s2, v2
	v_add_nc_u32_e32 v8, v8, v10
	s_delay_alu instid0(VALU_DEP_2) | instskip(NEXT) | instid1(VALU_DEP_2)
	v_mul_hi_u32 v10, v2, v9
	v_mul_lo_u32 v11, v2, v8
	v_mul_hi_u32 v12, v2, v8
	v_mul_hi_u32 v13, v7, v9
	v_mul_lo_u32 v9, v7, v9
	v_mul_hi_u32 v14, v7, v8
	v_mul_lo_u32 v8, v7, v8
	v_add_co_u32 v10, vcc_lo, v10, v11
	v_add_co_ci_u32_e32 v11, vcc_lo, 0, v12, vcc_lo
	s_delay_alu instid0(VALU_DEP_2) | instskip(NEXT) | instid1(VALU_DEP_2)
	v_add_co_u32 v9, vcc_lo, v10, v9
	v_add_co_ci_u32_e32 v9, vcc_lo, v11, v13, vcc_lo
	v_add_co_ci_u32_e32 v10, vcc_lo, 0, v14, vcc_lo
	s_delay_alu instid0(VALU_DEP_2) | instskip(NEXT) | instid1(VALU_DEP_2)
	v_add_co_u32 v8, vcc_lo, v9, v8
	v_add_co_ci_u32_e32 v9, vcc_lo, 0, v10, vcc_lo
	s_delay_alu instid0(VALU_DEP_2) | instskip(NEXT) | instid1(VALU_DEP_2)
	v_add_co_u32 v2, vcc_lo, v2, v8
	v_add_co_ci_u32_e32 v13, vcc_lo, v7, v9, vcc_lo
	s_delay_alu instid0(VALU_DEP_2) | instskip(SKIP_1) | instid1(VALU_DEP_3)
	v_mul_hi_u32 v14, v5, v2
	v_mad_u64_u32 v[9:10], null, v6, v2, 0
	v_mad_u64_u32 v[7:8], null, v5, v13, 0
	;; [unrolled: 1-line block ×3, first 2 shown]
	s_delay_alu instid0(VALU_DEP_2) | instskip(NEXT) | instid1(VALU_DEP_3)
	v_add_co_u32 v2, vcc_lo, v14, v7
	v_add_co_ci_u32_e32 v7, vcc_lo, 0, v8, vcc_lo
	s_delay_alu instid0(VALU_DEP_2) | instskip(NEXT) | instid1(VALU_DEP_2)
	v_add_co_u32 v2, vcc_lo, v2, v9
	v_add_co_ci_u32_e32 v2, vcc_lo, v7, v10, vcc_lo
	v_add_co_ci_u32_e32 v7, vcc_lo, 0, v12, vcc_lo
	s_delay_alu instid0(VALU_DEP_2) | instskip(NEXT) | instid1(VALU_DEP_2)
	v_add_co_u32 v2, vcc_lo, v2, v11
	v_add_co_ci_u32_e32 v9, vcc_lo, 0, v7, vcc_lo
	s_delay_alu instid0(VALU_DEP_2) | instskip(SKIP_1) | instid1(VALU_DEP_3)
	v_mul_lo_u32 v10, s19, v2
	v_mad_u64_u32 v[7:8], null, s18, v2, 0
	v_mul_lo_u32 v11, s18, v9
	s_delay_alu instid0(VALU_DEP_2) | instskip(NEXT) | instid1(VALU_DEP_2)
	v_sub_co_u32 v7, vcc_lo, v5, v7
	v_add3_u32 v8, v8, v11, v10
	s_delay_alu instid0(VALU_DEP_1) | instskip(NEXT) | instid1(VALU_DEP_1)
	v_sub_nc_u32_e32 v10, v6, v8
	v_subrev_co_ci_u32_e64 v10, s2, s19, v10, vcc_lo
	v_add_co_u32 v11, s2, v2, 2
	s_delay_alu instid0(VALU_DEP_1) | instskip(SKIP_3) | instid1(VALU_DEP_3)
	v_add_co_ci_u32_e64 v12, s2, 0, v9, s2
	v_sub_co_u32 v13, s2, v7, s18
	v_sub_co_ci_u32_e32 v8, vcc_lo, v6, v8, vcc_lo
	v_subrev_co_ci_u32_e64 v10, s2, 0, v10, s2
	v_cmp_le_u32_e32 vcc_lo, s18, v13
	s_delay_alu instid0(VALU_DEP_3) | instskip(SKIP_1) | instid1(VALU_DEP_4)
	v_cmp_eq_u32_e64 s2, s19, v8
	v_cndmask_b32_e64 v13, 0, -1, vcc_lo
	v_cmp_le_u32_e32 vcc_lo, s19, v10
	v_cndmask_b32_e64 v14, 0, -1, vcc_lo
	v_cmp_le_u32_e32 vcc_lo, s18, v7
	;; [unrolled: 2-line block ×3, first 2 shown]
	v_cndmask_b32_e64 v15, 0, -1, vcc_lo
	v_cmp_eq_u32_e32 vcc_lo, s19, v10
	s_delay_alu instid0(VALU_DEP_2) | instskip(SKIP_3) | instid1(VALU_DEP_3)
	v_cndmask_b32_e64 v7, v15, v7, s2
	v_cndmask_b32_e32 v10, v14, v13, vcc_lo
	v_add_co_u32 v13, vcc_lo, v2, 1
	v_add_co_ci_u32_e32 v14, vcc_lo, 0, v9, vcc_lo
	v_cmp_ne_u32_e32 vcc_lo, 0, v10
	s_delay_alu instid0(VALU_DEP_2) | instskip(NEXT) | instid1(VALU_DEP_4)
	v_cndmask_b32_e32 v8, v14, v12, vcc_lo
	v_cndmask_b32_e32 v10, v13, v11, vcc_lo
	v_cmp_ne_u32_e32 vcc_lo, 0, v7
	s_delay_alu instid0(VALU_DEP_2)
	v_dual_cndmask_b32 v7, v2, v10 :: v_dual_cndmask_b32 v8, v9, v8
.LBB0_4:                                ;   in Loop: Header=BB0_2 Depth=1
	s_and_not1_saveexec_b32 s2, s3
	s_cbranch_execz .LBB0_6
; %bb.5:                                ;   in Loop: Header=BB0_2 Depth=1
	v_cvt_f32_u32_e32 v2, s18
	s_sub_i32 s3, 0, s18
	s_delay_alu instid0(VALU_DEP_1) | instskip(SKIP_2) | instid1(VALU_DEP_1)
	v_rcp_iflag_f32_e32 v2, v2
	s_waitcnt_depctr 0xfff
	v_mul_f32_e32 v2, 0x4f7ffffe, v2
	v_cvt_u32_f32_e32 v2, v2
	s_delay_alu instid0(VALU_DEP_1) | instskip(NEXT) | instid1(VALU_DEP_1)
	v_mul_lo_u32 v7, s3, v2
	v_mul_hi_u32 v7, v2, v7
	s_delay_alu instid0(VALU_DEP_1) | instskip(NEXT) | instid1(VALU_DEP_1)
	v_add_nc_u32_e32 v2, v2, v7
	v_mul_hi_u32 v2, v5, v2
	s_delay_alu instid0(VALU_DEP_1) | instskip(SKIP_1) | instid1(VALU_DEP_2)
	v_mul_lo_u32 v7, v2, s18
	v_add_nc_u32_e32 v8, 1, v2
	v_sub_nc_u32_e32 v7, v5, v7
	s_delay_alu instid0(VALU_DEP_1) | instskip(SKIP_1) | instid1(VALU_DEP_2)
	v_subrev_nc_u32_e32 v9, s18, v7
	v_cmp_le_u32_e32 vcc_lo, s18, v7
	v_dual_cndmask_b32 v7, v7, v9 :: v_dual_cndmask_b32 v2, v2, v8
	s_delay_alu instid0(VALU_DEP_1) | instskip(NEXT) | instid1(VALU_DEP_2)
	v_cmp_le_u32_e32 vcc_lo, s18, v7
	v_add_nc_u32_e32 v8, 1, v2
	s_delay_alu instid0(VALU_DEP_1)
	v_dual_cndmask_b32 v7, v2, v8 :: v_dual_mov_b32 v8, v1
.LBB0_6:                                ;   in Loop: Header=BB0_2 Depth=1
	s_or_b32 exec_lo, exec_lo, s2
	s_load_b64 s[2:3], s[12:13], 0x0
	s_delay_alu instid0(VALU_DEP_1) | instskip(NEXT) | instid1(VALU_DEP_2)
	v_mul_lo_u32 v2, v8, s18
	v_mul_lo_u32 v11, v7, s19
	v_mad_u64_u32 v[9:10], null, v7, s18, 0
	s_add_u32 s16, s16, 1
	s_addc_u32 s17, s17, 0
	s_add_u32 s12, s12, 8
	s_addc_u32 s13, s13, 0
	;; [unrolled: 2-line block ×3, first 2 shown]
	s_delay_alu instid0(VALU_DEP_1) | instskip(SKIP_1) | instid1(VALU_DEP_2)
	v_add3_u32 v2, v10, v11, v2
	v_sub_co_u32 v9, vcc_lo, v5, v9
	v_sub_co_ci_u32_e32 v2, vcc_lo, v6, v2, vcc_lo
	s_waitcnt lgkmcnt(0)
	s_delay_alu instid0(VALU_DEP_2) | instskip(NEXT) | instid1(VALU_DEP_2)
	v_mul_lo_u32 v10, s3, v9
	v_mul_lo_u32 v2, s2, v2
	v_mad_u64_u32 v[5:6], null, s2, v9, v[3:4]
	v_cmp_ge_u64_e64 s2, s[16:17], s[6:7]
	s_delay_alu instid0(VALU_DEP_1) | instskip(NEXT) | instid1(VALU_DEP_2)
	s_and_b32 vcc_lo, exec_lo, s2
	v_add3_u32 v4, v10, v6, v2
	s_delay_alu instid0(VALU_DEP_3)
	v_mov_b32_e32 v3, v5
	s_cbranch_vccnz .LBB0_9
; %bb.7:                                ;   in Loop: Header=BB0_2 Depth=1
	v_dual_mov_b32 v5, v7 :: v_dual_mov_b32 v6, v8
	s_branch .LBB0_2
.LBB0_8:
	v_dual_mov_b32 v8, v6 :: v_dual_mov_b32 v7, v5
.LBB0_9:
	s_lshl_b64 s[2:3], s[6:7], 3
	v_mul_hi_u32 v1, 0x4924925, v0
	s_add_u32 s2, s10, s2
	s_addc_u32 s3, s11, s3
	s_load_b64 s[0:1], s[0:1], 0x20
	s_load_b64 s[2:3], s[2:3], 0x0
	s_delay_alu instid0(VALU_DEP_1) | instskip(NEXT) | instid1(VALU_DEP_1)
	v_mul_u32_u24_e32 v1, 56, v1
	v_sub_nc_u32_e32 v48, v0, v1
	s_delay_alu instid0(VALU_DEP_1)
	v_add_nc_u32_e32 v56, 56, v48
	v_add_nc_u32_e32 v66, 0x70, v48
	;; [unrolled: 1-line block ×5, first 2 shown]
	s_waitcnt lgkmcnt(0)
	v_cmp_gt_u64_e32 vcc_lo, s[0:1], v[7:8]
	v_mul_lo_u32 v2, s2, v8
	v_mul_lo_u32 v5, s3, v7
	v_mad_u64_u32 v[0:1], null, s2, v7, v[3:4]
	v_cmp_le_u64_e64 s0, s[0:1], v[7:8]
	v_add_nc_u32_e32 v62, 0x150, v48
	v_add_nc_u32_e32 v61, 0x188, v48
	v_or_b32_e32 v60, 0x1c0, v48
	v_add3_u32 v1, v5, v1, v2
	s_and_saveexec_b32 s1, s0
	s_delay_alu instid0(SALU_CYCLE_1)
	s_xor_b32 s0, exec_lo, s1
; %bb.10:
	v_add_nc_u32_e32 v56, 56, v48
	v_add_nc_u32_e32 v66, 0x70, v48
	;; [unrolled: 1-line block ×7, first 2 shown]
	v_or_b32_e32 v60, 0x1c0, v48
; %bb.11:
	s_or_saveexec_b32 s1, s0
	v_lshlrev_b64 v[54:55], 3, v[0:1]
	v_lshl_add_u32 v93, v48, 3, 0
	v_or_b32_e32 v58, 0x380, v48
	v_or_b32_e32 v50, 0x540, v48
	;; [unrolled: 1-line block ×3, first 2 shown]
	s_xor_b32 exec_lo, exec_lo, s1
	s_cbranch_execz .LBB0_13
; %bb.12:
	v_dual_mov_b32 v49, 0 :: v_dual_add_nc_u32 v90, 0x2400, v93
	v_add_co_u32 v57, s0, s8, v54
	s_delay_alu instid0(VALU_DEP_1) | instskip(NEXT) | instid1(VALU_DEP_3)
	v_add_co_ci_u32_e64 v79, s0, s9, v55, s0
	v_lshlrev_b64 v[0:1], 3, v[48:49]
	v_dual_mov_b32 v59, v49 :: v_dual_add_nc_u32 v92, 0x3000, v93
	v_dual_mov_b32 v51, v49 :: v_dual_add_nc_u32 v94, 0x3800, v93
	v_mov_b32_e32 v53, v49
	s_delay_alu instid0(VALU_DEP_4) | instskip(NEXT) | instid1(VALU_DEP_1)
	v_add_co_u32 v0, s0, v57, v0
	v_add_co_ci_u32_e64 v1, s0, v79, v1, s0
	v_lshlrev_b64 v[20:21], 3, v[58:59]
	s_delay_alu instid0(VALU_DEP_3) | instskip(NEXT) | instid1(VALU_DEP_1)
	v_add_co_u32 v10, s0, 0x1000, v0
	v_add_co_ci_u32_e64 v11, s0, 0, v1, s0
	v_lshlrev_b64 v[40:41], 3, v[50:51]
	s_delay_alu instid0(VALU_DEP_4) | instskip(NEXT) | instid1(VALU_DEP_1)
	v_add_co_u32 v20, s0, v57, v20
	v_add_co_ci_u32_e64 v21, s0, v79, v21, s0
	v_add_co_u32 v30, s0, 0x2000, v0
	s_delay_alu instid0(VALU_DEP_1)
	v_add_co_ci_u32_e64 v31, s0, 0, v1, s0
	v_add_co_u32 v40, s0, v57, v40
	v_lshlrev_b64 v[77:78], 3, v[52:53]
	v_add_co_ci_u32_e64 v41, s0, v79, v41, s0
	s_clause 0xb
	global_load_b64 v[2:3], v[0:1], off
	global_load_b64 v[4:5], v[0:1], off offset:448
	global_load_b64 v[6:7], v[0:1], off offset:896
	;; [unrolled: 1-line block ×11, first 2 shown]
	v_add_co_u32 v0, s0, 0x3000, v0
	s_delay_alu instid0(VALU_DEP_1) | instskip(SKIP_1) | instid1(VALU_DEP_1)
	v_add_co_ci_u32_e64 v1, s0, 0, v1, s0
	v_add_co_u32 v77, s0, v57, v77
	v_add_co_ci_u32_e64 v78, s0, v79, v78, s0
	s_clause 0x16
	global_load_b64 v[32:33], v[10:11], off offset:1280
	global_load_b64 v[34:35], v[10:11], off offset:1728
	;; [unrolled: 1-line block ×6, first 2 shown]
	global_load_b64 v[20:21], v[20:21], off
	global_load_b64 v[10:11], v[10:11], off offset:3968
	global_load_b64 v[46:47], v[30:31], off offset:768
	global_load_b64 v[67:68], v[30:31], off offset:1216
	global_load_b64 v[69:70], v[30:31], off offset:1664
	global_load_b64 v[71:72], v[30:31], off offset:2112
	global_load_b64 v[73:74], v[30:31], off offset:3008
	global_load_b64 v[75:76], v[30:31], off offset:3456
	global_load_b64 v[40:41], v[40:41], off
	global_load_b64 v[30:31], v[30:31], off offset:3904
	global_load_b64 v[79:80], v[0:1], off offset:256
	;; [unrolled: 1-line block ×6, first 2 shown]
	global_load_b64 v[77:78], v[77:78], off
	global_load_b64 v[0:1], v[0:1], off offset:2944
	v_add_nc_u32_e32 v49, 0x400, v93
	v_add_nc_u32_e32 v51, 0x800, v93
	v_add_nc_u32_e32 v53, 0x1000, v93
	v_add_nc_u32_e32 v57, 0x1800, v93
	v_add_nc_u32_e32 v59, 0x1c00, v93
	v_add_nc_u32_e32 v89, 0x2000, v93
	v_add_nc_u32_e32 v91, 0x2800, v93
	s_waitcnt vmcnt(33)
	ds_store_2addr_b64 v93, v[2:3], v[4:5] offset1:56
	s_waitcnt vmcnt(31)
	ds_store_2addr_b64 v93, v[6:7], v[8:9] offset0:112 offset1:168
	s_waitcnt vmcnt(29)
	ds_store_2addr_b64 v49, v[12:13], v[14:15] offset0:96 offset1:152
	;; [unrolled: 2-line block ×15, first 2 shown]
	s_waitcnt vmcnt(1)
	ds_store_2addr_b64 v94, v[77:78], v[87:88] offset1:56
	s_waitcnt vmcnt(0)
	ds_store_b64 v93, v[0:1] offset:15232
.LBB0_13:
	s_or_b32 exec_lo, exec_lo, s1
	v_add_nc_u32_e32 v15, 0x1c00, v93
	v_add_nc_u32_e32 v16, 0x800, v93
	;; [unrolled: 1-line block ×3, first 2 shown]
	s_waitcnt lgkmcnt(0)
	s_barrier
	buffer_gl0_inv
	ds_load_2addr_b64 v[21:24], v93 offset1:56
	ds_load_2addr_b64 v[25:28], v15 offset0:84 offset1:140
	ds_load_2addr_b64 v[0:3], v16 offset0:192 offset1:234
	;; [unrolled: 1-line block ×4, first 2 shown]
	v_add_nc_u32_e32 v12, 0x3000, v93
	v_add_nc_u32_e32 v13, 0x1800, v93
	v_lshl_add_u32 v47, v56, 5, 0
	s_mov_b32 s1, exec_lo
	s_waitcnt lgkmcnt(3)
	v_dual_sub_f32 v14, v21, v25 :: v_dual_sub_f32 v19, v22, v26
	s_waitcnt lgkmcnt(1)
	v_dual_sub_f32 v18, v2, v31 :: v_dual_sub_f32 v17, v3, v32
	v_add_nc_u32_e32 v9, 0x2000, v93
	s_delay_alu instid0(VALU_DEP_3) | instskip(SKIP_1) | instid1(VALU_DEP_4)
	v_fma_f32 v21, v21, 2.0, -v14
	v_fma_f32 v22, v22, 2.0, -v19
	;; [unrolled: 1-line block ×3, first 2 shown]
	v_sub_f32_e32 v18, v19, v18
	v_fma_f32 v3, v3, 2.0, -v17
	v_add_nc_u32_e32 v6, 0x1000, v93
	s_delay_alu instid0(VALU_DEP_4) | instskip(NEXT) | instid1(VALU_DEP_4)
	v_dual_sub_f32 v10, v21, v2 :: v_dual_add_nc_u32 v7, 0x2c00, v93
	v_fma_f32 v26, v19, 2.0, -v18
	s_delay_alu instid0(VALU_DEP_4)
	v_sub_f32_e32 v11, v22, v3
	ds_load_2addr_b64 v[37:40], v6 offset0:34 offset1:90
	ds_load_2addr_b64 v[41:44], v7 offset0:118 offset1:174
	;; [unrolled: 1-line block ×4, first 2 shown]
	v_dual_sub_f32 v31, v24, v28 :: v_dual_add_nc_u32 v4, 0x400, v93
	ds_load_2addr_b64 v[75:78], v12 offset0:102 offset1:158
	v_fma_f32 v21, v21, 2.0, -v10
	v_fma_f32 v22, v22, 2.0, -v11
	s_waitcnt lgkmcnt(3)
	v_sub_f32_e32 v19, v37, v41
	v_add_f32_e32 v17, v14, v17
	v_fma_f32 v41, v24, 2.0, -v31
	s_waitcnt lgkmcnt(2)
	v_sub_f32_e32 v46, v36, v70
	v_sub_f32_e32 v28, v31, v19
	v_fma_f32 v25, v14, 2.0, -v17
	v_dual_sub_f32 v14, v23, v27 :: v_dual_sub_f32 v27, v38, v42
	ds_load_2addr_b64 v[79:82], v4 offset0:96 offset1:152
	ds_load_2addr_b64 v[83:86], v9 offset0:180 offset1:236
	;; [unrolled: 1-line block ×3, first 2 shown]
	v_fma_f32 v32, v23, 2.0, -v14
	v_fma_f32 v24, v38, 2.0, -v27
	v_add_nc_u32_e32 v5, 0x3400, v93
	v_fma_f32 v23, v37, 2.0, -v19
	v_add_nc_u32_e32 v20, 0x3800, v93
	v_lshl_add_u32 v37, v48, 5, 0
	v_sub_f32_e32 v24, v41, v24
	ds_load_2addr_b64 v[94:97], v5 offset0:86 offset1:142
	v_sub_f32_e32 v23, v32, v23
	ds_load_2addr_b64 v[98:101], v16 offset0:80 offset1:136
	ds_load_2addr_b64 v[102:105], v8 offset0:36 offset1:92
	;; [unrolled: 1-line block ×4, first 2 shown]
	v_add_f32_e32 v27, v14, v27
	s_waitcnt lgkmcnt(0)
	s_barrier
	buffer_gl0_inv
	ds_store_2addr_b64 v37, v[21:22], v[25:26] offset1:1
	ds_store_2addr_b64 v37, v[10:11], v[17:18] offset0:2 offset1:3
	v_fma_f32 v21, v14, 2.0, -v27
	v_dual_sub_f32 v11, v40, v44 :: v_dual_sub_f32 v14, v33, v67
	v_dual_sub_f32 v17, v34, v68 :: v_dual_sub_f32 v10, v39, v43
	v_sub_f32_e32 v49, v73, v77
	s_delay_alu instid0(VALU_DEP_3) | instskip(SKIP_1) | instid1(VALU_DEP_4)
	v_fma_f32 v26, v40, 2.0, -v11
	v_sub_f32_e32 v40, v71, v75
	v_fma_f32 v34, v34, 2.0, -v17
	v_fma_f32 v25, v39, 2.0, -v10
	v_sub_f32_e32 v39, v72, v76
	v_dual_sub_f32 v51, v74, v78 :: v_dual_sub_f32 v92, v99, v103
	v_sub_f32_e32 v53, v79, v83
	v_dual_sub_f32 v57, v80, v84 :: v_dual_sub_f32 v26, v34, v26
	v_sub_f32_e32 v76, v87, v94
	v_sub_f32_e32 v67, v82, v86
	v_dual_sub_f32 v75, v88, v95 :: v_dual_sub_f32 v86, v90, v97
	v_fma_f32 v18, v32, 2.0, -v23
	v_dual_sub_f32 v32, v17, v10 :: v_dual_sub_f32 v45, v35, v69
	v_sub_f32_e32 v94, v100, v104
	v_fma_f32 v44, v36, 2.0, -v46
	v_fma_f32 v38, v72, 2.0, -v39
	v_sub_f32_e32 v59, v81, v85
	v_fma_f32 v42, v74, 2.0, -v51
	v_fma_f32 v70, v80, 2.0, -v57
	;; [unrolled: 3-line block ×3, first 2 shown]
	v_fma_f32 v88, v99, 2.0, -v92
	v_sub_f32_e32 v42, v70, v42
	v_dual_sub_f32 v72, v57, v49 :: v_dual_sub_f32 v91, v98, v102
	v_fma_f32 v33, v33, 2.0, -v14
	v_fma_f32 v19, v41, 2.0, -v24
	;; [unrolled: 1-line block ×6, first 2 shown]
	v_dual_sub_f32 v95, v101, v105 :: v_dual_sub_f32 v40, v46, v40
	v_fma_f32 v73, v87, 2.0, -v76
	v_fma_f32 v83, v89, 2.0, -v85
	v_dual_add_f32 v31, v14, v11 :: v_dual_sub_f32 v84, v88, v84
	v_sub_f32_e32 v76, v67, v76
	v_fma_f32 v87, v98, 2.0, -v91
	v_sub_f32_e32 v49, v2, v106
	v_add_f32_e32 v71, v53, v51
	v_sub_f32_e32 v51, v3, v107
	v_fma_f32 v68, v79, 2.0, -v53
	v_fma_f32 v80, v82, 2.0, -v67
	v_sub_f32_e32 v38, v44, v38
	v_fma_f32 v79, v81, 2.0, -v59
	v_sub_f32_e32 v25, v33, v25
	v_fma_f32 v96, v100, 2.0, -v94
	v_sub_f32_e32 v74, v80, v74
	v_fma_f32 v97, v101, 2.0, -v95
	v_sub_f32_e32 v37, v43, v37
	v_dual_add_f32 v39, v45, v39 :: v_dual_sub_f32 v10, v0, v29
	v_fma_f32 v78, v57, 2.0, -v72
	v_sub_f32_e32 v83, v87, v83
	v_sub_f32_e32 v11, v1, v30
	v_fma_f32 v57, v3, 2.0, -v51
	v_fma_f32 v30, v88, 2.0, -v84
	v_sub_f32_e32 v88, v95, v49
	v_fma_f32 v77, v53, 2.0, -v71
	v_fma_f32 v53, v2, 2.0, -v49
	;; [unrolled: 1-line block ×4, first 2 shown]
	v_dual_sub_f32 v41, v68, v41 :: v_dual_add_f32 v2, v91, v86
	v_sub_f32_e32 v73, v79, v73
	v_dual_add_f32 v75, v59, v75 :: v_dual_sub_f32 v86, v97, v57
	v_dual_sub_f32 v14, v4, v108 :: v_dual_sub_f32 v17, v5, v109
	v_fma_f32 v33, v33, 2.0, -v25
	v_fma_f32 v34, v34, 2.0, -v26
	v_sub_f32_e32 v3, v92, v85
	ds_store_2addr_b64 v47, v[18:19], v[21:22] offset1:1
	ds_store_2addr_b64 v47, v[23:24], v[27:28] offset0:2 offset1:3
	v_lshl_add_u32 v18, v66, 5, 0
	v_fma_f32 v43, v43, 2.0, -v37
	v_fma_f32 v44, v44, 2.0, -v38
	;; [unrolled: 1-line block ×5, first 2 shown]
	v_sub_f32_e32 v85, v96, v53
	v_add_f32_e32 v87, v94, v51
	v_lshl_add_u32 v19, v65, 5, 0
	v_fma_f32 v69, v68, 2.0, -v41
	v_sub_f32_e32 v68, v11, v14
	v_fma_f32 v70, v70, 2.0, -v42
	v_fma_f32 v79, v79, 2.0, -v73
	;; [unrolled: 1-line block ×5, first 2 shown]
	v_add_f32_e32 v67, v10, v17
	v_lshl_add_u32 v21, v64, 5, 0
	v_lshl_add_u32 v49, v63, 5, 0
	v_fma_f32 v89, v91, 2.0, -v2
	v_fma_f32 v90, v92, 2.0, -v3
	ds_store_2addr_b64 v18, v[33:34], v[35:36] offset1:1
	ds_store_2addr_b64 v18, v[25:26], v[31:32] offset0:2 offset1:3
	ds_store_2addr_b64 v19, v[43:44], v[45:46] offset1:1
	ds_store_2addr_b64 v19, v[37:38], v[39:40] offset0:2 offset1:3
	v_lshl_add_u32 v18, v62, 5, 0
	v_fma_f32 v91, v96, 2.0, -v85
	v_fma_f32 v92, v97, 2.0, -v86
	;; [unrolled: 1-line block ×4, first 2 shown]
	v_lshl_add_u32 v19, v61, 5, 0
	ds_store_2addr_b64 v21, v[69:70], v[77:78] offset1:1
	ds_store_2addr_b64 v21, v[41:42], v[71:72] offset0:2 offset1:3
	ds_store_2addr_b64 v49, v[79:80], v[81:82] offset1:1
	ds_store_2addr_b64 v49, v[73:74], v[75:76] offset0:2 offset1:3
	;; [unrolled: 2-line block ×4, first 2 shown]
	v_cmpx_gt_u32_e32 42, v48
	s_cbranch_execz .LBB0_15
; %bb.14:
	v_fma_f32 v18, v1, 2.0, -v11
	v_fma_f32 v1, v5, 2.0, -v17
	;; [unrolled: 1-line block ×6, first 2 shown]
	v_sub_f32_e32 v1, v18, v1
	v_lshl_add_u32 v10, v60, 5, 0
	v_sub_f32_e32 v0, v17, v0
	s_delay_alu instid0(VALU_DEP_3) | instskip(NEXT) | instid1(VALU_DEP_2)
	v_fma_f32 v5, v18, 2.0, -v1
	v_fma_f32 v4, v17, 2.0, -v0
	ds_store_2addr_b64 v10, v[4:5], v[2:3] offset1:1
	ds_store_2addr_b64 v10, v[0:1], v[67:68] offset0:2 offset1:3
.LBB0_15:
	s_or_b32 exec_lo, exec_lo, s1
	v_and_b32_e32 v14, 3, v48
	s_waitcnt lgkmcnt(0)
	s_barrier
	buffer_gl0_inv
	v_mad_i32_i24 v10, 0xffffffe8, v63, v49
	v_mul_u32_u24_e32 v0, 6, v14
	v_lshl_add_u32 v94, v56, 3, 0
	v_lshl_add_u32 v59, v66, 3, 0
	;; [unrolled: 1-line block ×4, first 2 shown]
	v_lshlrev_b32_e32 v0, 3, v0
	v_cmp_gt_u32_e64 s0, 28, v48
	s_clause 0x2
	global_load_b128 v[25:28], v0, s[4:5]
	global_load_b128 v[37:40], v0, s[4:5] offset:16
	global_load_b128 v[41:44], v0, s[4:5] offset:32
	ds_load_2addr_b64 v[29:32], v6 offset0:48 offset1:104
	ds_load_2addr_b64 v[33:36], v13 offset0:16 offset1:72
	;; [unrolled: 1-line block ×5, first 2 shown]
	ds_load_b64 v[21:22], v10
	ds_load_2addr_b64 v[81:84], v16 offset0:80 offset1:136
	ds_load_2addr_b64 v[85:88], v13 offset0:128 offset1:184
	;; [unrolled: 1-line block ×4, first 2 shown]
	ds_load_2addr_b64 v[99:102], v20 offset1:56
	ds_load_2addr_b64 v[103:106], v16 offset0:192 offset1:248
	ds_load_2addr_b64 v[107:110], v15 offset0:112 offset1:168
	;; [unrolled: 1-line block ×3, first 2 shown]
	v_add_nc_u32_e32 v11, 0x2400, v93
	s_waitcnt vmcnt(2) lgkmcnt(8)
	v_mul_f32_e32 v47, v22, v26
	s_waitcnt vmcnt(1)
	v_mul_f32_e32 v124, v36, v38
	ds_load_b64 v[2:3], v93
	ds_load_b64 v[45:46], v93 offset:15232
	ds_load_2addr_b64 v[115:118], v11 offset0:80 offset1:136
	ds_load_b64 v[119:120], v94
	ds_load_b64 v[121:122], v59
	;; [unrolled: 1-line block ×4, first 2 shown]
	v_mul_f32_e32 v57, v21, v26
	s_waitcnt lgkmcnt(14)
	v_dual_mul_f32 v123, v30, v28 :: v_dual_mul_f32 v128, v83, v26
	v_dual_mul_f32 v17, v29, v28 :: v_dual_mul_f32 v126, v82, v26
	s_waitcnt lgkmcnt(9)
	v_dual_mul_f32 v125, v32, v28 :: v_dual_mul_f32 v132, v103, v26
	v_dual_mul_f32 v18, v31, v28 :: v_dual_mul_f32 v19, v81, v26
	;; [unrolled: 1-line block ×3, first 2 shown]
	v_mul_f32_e32 v129, v96, v28
	v_dual_mul_f32 v23, v98, v28 :: v_dual_mul_f32 v24, v104, v26
	v_mul_f32_e32 v131, v97, v28
	v_dual_mul_f32 v15, v106, v26 :: v_dual_mul_f32 v136, v33, v28
	v_mul_f32_e32 v26, v105, v26
	v_dual_mul_f32 v16, v34, v28 :: v_dual_fmac_f32 v123, v29, v27
	v_dual_mul_f32 v133, v35, v38 :: v_dual_mul_f32 v134, v70, v40
	s_waitcnt lgkmcnt(8)
	v_dual_mul_f32 v135, v69, v40 :: v_dual_mul_f32 v28, v108, v38
	v_fma_f32 v137, v30, v27, -v17
	v_dual_fmac_f32 v125, v31, v27 :: v_dual_mul_f32 v140, v72, v40
	v_fma_f32 v138, v32, v27, -v18
	v_dual_mul_f32 v139, v86, v38 :: v_dual_fmac_f32 v126, v81, v25
	v_mul_f32_e32 v31, v85, v38
	v_mul_f32_e32 v141, v71, v40
	v_fma_f32 v81, v82, v25, -v19
	s_waitcnt lgkmcnt(4)
	v_dual_fmac_f32 v127, v83, v25 :: v_dual_mul_f32 v30, v118, v40
	v_fma_f32 v82, v84, v25, -v128
	v_dual_mul_f32 v83, v88, v38 :: v_dual_mul_f32 v142, v115, v40
	v_mul_f32_e32 v84, v87, v38
	v_dual_mul_f32 v128, v116, v40 :: v_dual_fmac_f32 v129, v95, v27
	v_mul_f32_e32 v18, v74, v40
	v_fma_f32 v95, v96, v27, -v130
	v_dual_fmac_f32 v23, v97, v27 :: v_dual_mul_f32 v96, v107, v38
	v_fma_f32 v29, v98, v27, -v131
	v_dual_mul_f32 v97, v117, v40 :: v_dual_fmac_f32 v24, v103, v25
	s_waitcnt vmcnt(0)
	v_dual_fmac_f32 v15, v105, v25 :: v_dual_mul_f32 v98, v75, v42
	v_fma_f32 v19, v106, v25, -v26
	v_mul_f32_e32 v17, v110, v38
	v_mul_f32_e32 v26, v109, v38
	;; [unrolled: 1-line block ×3, first 2 shown]
	v_fma_f32 v40, v22, v25, -v57
	v_dual_mul_f32 v57, v76, v42 :: v_dual_fmac_f32 v16, v33, v27
	v_dual_mul_f32 v103, v78, v44 :: v_dual_fmac_f32 v124, v35, v37
	v_mul_f32_e32 v33, v77, v44
	v_dual_mul_f32 v105, v89, v42 :: v_dual_mul_f32 v130, v80, v44
	v_dual_mul_f32 v131, v79, v44 :: v_dual_fmac_f32 v134, v69, v39
	v_fma_f32 v32, v104, v25, -v132
	v_dual_fmac_f32 v47, v21, v25 :: v_dual_mul_f32 v104, v90, v42
	v_fma_f32 v21, v34, v27, -v136
	v_fma_f32 v106, v36, v37, -v133
	v_mul_f32_e32 v132, v92, v42
	v_dual_mul_f32 v133, v91, v42 :: v_dual_mul_f32 v36, v102, v44
	v_fma_f32 v69, v70, v39, -v135
	v_dual_fmac_f32 v140, v71, v39 :: v_dual_mul_f32 v71, v100, v44
	v_fma_f32 v70, v72, v39, -v141
	v_dual_mul_f32 v72, v99, v44 :: v_dual_fmac_f32 v139, v85, v37
	v_dual_mul_f32 v34, v112, v42 :: v_dual_fmac_f32 v83, v87, v37
	;; [unrolled: 1-line block ×3, first 2 shown]
	v_fma_f32 v85, v86, v37, -v31
	v_fma_f32 v84, v88, v37, -v84
	v_dual_mul_f32 v31, v101, v44 :: v_dual_mul_f32 v22, v114, v42
	v_dual_mul_f32 v42, v113, v42 :: v_dual_mul_f32 v27, v46, v44
	v_dual_fmac_f32 v128, v115, v39 :: v_dual_fmac_f32 v17, v109, v37
	v_fma_f32 v86, v116, v39, -v142
	v_fma_f32 v35, v118, v39, -v97
	v_dual_mul_f32 v44, v45, v44 :: v_dual_fmac_f32 v57, v75, v41
	v_dual_fmac_f32 v28, v107, v37 :: v_dual_fmac_f32 v103, v77, v43
	v_fma_f32 v107, v108, v37, -v96
	v_fma_f32 v25, v110, v37, -v26
	v_fmac_f32_e32 v18, v73, v39
	v_fma_f32 v26, v74, v39, -v38
	v_fma_f32 v37, v76, v41, -v98
	;; [unrolled: 1-line block ×5, first 2 shown]
	v_fmac_f32_e32 v130, v79, v43
	v_dual_fmac_f32 v104, v89, v41 :: v_dual_fmac_f32 v71, v99, v43
	v_dual_fmac_f32 v132, v91, v41 :: v_dual_fmac_f32 v27, v45, v43
	v_fma_f32 v74, v92, v41, -v133
	v_fma_f32 v72, v100, v43, -v72
	v_fmac_f32_e32 v36, v101, v43
	v_fma_f32 v105, v102, v43, -v31
	v_fmac_f32_e32 v34, v111, v41
	;; [unrolled: 2-line block ×3, first 2 shown]
	v_fma_f32 v31, v114, v41, -v42
	v_add_f32_e32 v41, v47, v103
	v_fma_f32 v33, v46, v43, -v44
	v_dual_add_f32 v42, v40, v38 :: v_dual_sub_f32 v43, v47, v103
	v_sub_f32_e32 v38, v40, v38
	v_add_f32_e32 v40, v123, v57
	v_add_f32_e32 v44, v137, v37
	v_sub_f32_e32 v45, v123, v57
	v_sub_f32_e32 v37, v137, v37
	v_add_f32_e32 v75, v126, v130
	v_dual_add_f32 v46, v124, v134 :: v_dual_add_f32 v79, v138, v73
	v_dual_sub_f32 v57, v134, v124 :: v_dual_add_f32 v76, v81, v39
	v_sub_f32_e32 v77, v126, v130
	v_add_f32_e32 v47, v106, v69
	v_sub_f32_e32 v69, v69, v106
	v_sub_f32_e32 v39, v81, v39
	v_dual_add_f32 v78, v125, v104 :: v_dual_sub_f32 v73, v138, v73
	v_sub_f32_e32 v80, v125, v104
	v_dual_add_f32 v81, v139, v140 :: v_dual_sub_f32 v88, v140, v139
	v_dual_add_f32 v87, v85, v70 :: v_dual_sub_f32 v70, v70, v85
	v_add_f32_e32 v85, v127, v71
	v_dual_add_f32 v89, v82, v72 :: v_dual_add_f32 v90, v95, v74
	v_dual_sub_f32 v71, v127, v71 :: v_dual_sub_f32 v72, v82, v72
	v_add_f32_e32 v82, v129, v132
	v_dual_sub_f32 v91, v129, v132 :: v_dual_sub_f32 v74, v95, v74
	v_dual_add_f32 v92, v83, v128 :: v_dual_sub_f32 v83, v128, v83
	v_dual_add_f32 v95, v84, v86 :: v_dual_sub_f32 v84, v86, v84
	v_sub_f32_e32 v97, v40, v41
	v_dual_add_f32 v86, v40, v41 :: v_dual_sub_f32 v41, v41, v46
	v_dual_add_f32 v96, v44, v42 :: v_dual_sub_f32 v99, v46, v40
	v_dual_sub_f32 v98, v44, v42 :: v_dual_sub_f32 v101, v57, v45
	v_add_f32_e32 v40, v57, v45
	v_dual_sub_f32 v45, v45, v43 :: v_dual_add_f32 v104, v79, v76
	v_dual_sub_f32 v42, v42, v47 :: v_dual_sub_f32 v57, v43, v57
	v_sub_f32_e32 v44, v47, v44
	v_dual_add_f32 v100, v69, v37 :: v_dual_sub_f32 v109, v79, v76
	v_dual_sub_f32 v102, v69, v37 :: v_dual_sub_f32 v79, v87, v79
	v_dual_sub_f32 v103, v37, v38 :: v_dual_sub_f32 v106, v78, v75
	v_add_f32_e32 v37, v78, v75
	v_dual_sub_f32 v75, v75, v81 :: v_dual_sub_f32 v76, v76, v87
	v_dual_sub_f32 v78, v81, v78 :: v_dual_add_f32 v111, v90, v89
	v_add_f32_e32 v110, v82, v85
	v_dual_add_f32 v112, v88, v80 :: v_dual_sub_f32 v113, v82, v85
	v_sub_f32_e32 v82, v92, v82
	v_dual_sub_f32 v114, v90, v89 :: v_dual_sub_f32 v89, v89, v95
	v_dual_sub_f32 v90, v95, v90 :: v_dual_add_f32 v115, v70, v73
	v_dual_sub_f32 v116, v88, v80 :: v_dual_sub_f32 v117, v70, v73
	v_dual_sub_f32 v88, v77, v88 :: v_dual_sub_f32 v123, v83, v91
	;; [unrolled: 1-line block ×3, first 2 shown]
	v_dual_add_f32 v118, v83, v91 :: v_dual_sub_f32 v125, v84, v74
	v_dual_sub_f32 v91, v91, v71 :: v_dual_add_f32 v124, v84, v74
	v_dual_add_f32 v46, v46, v86 :: v_dual_add_f32 v47, v47, v96
	v_dual_add_f32 v86, v87, v104 :: v_dual_add_f32 v43, v40, v43
	v_sub_f32_e32 v69, v38, v69
	v_dual_sub_f32 v85, v85, v92 :: v_dual_sub_f32 v70, v39, v70
	v_add_f32_e32 v81, v81, v37
	v_dual_sub_f32 v83, v71, v83 :: v_dual_sub_f32 v84, v72, v84
	v_add_f32_e32 v71, v118, v71
	v_dual_sub_f32 v74, v74, v72 :: v_dual_add_f32 v87, v92, v110
	v_dual_add_f32 v92, v95, v111 :: v_dual_add_f32 v95, v100, v38
	v_dual_add_f32 v77, v112, v77 :: v_dual_add_f32 v96, v115, v39
	v_dual_add_f32 v72, v124, v72 :: v_dual_mul_f32 v41, 0x3f4a47b2, v41
	v_dual_mul_f32 v100, 0x3d64c772, v99 :: v_dual_mul_f32 v127, 0x3d64c772, v90
	v_dual_mul_f32 v42, 0x3f4a47b2, v42 :: v_dual_mul_f32 v75, 0x3f4a47b2, v75
	;; [unrolled: 1-line block ×5, first 2 shown]
	v_dual_mul_f32 v112, 0x3d64c772, v78 :: v_dual_add_f32 v3, v47, v3
	v_dual_mul_f32 v76, 0x3f4a47b2, v76 :: v_dual_mul_f32 v85, 0x3f4a47b2, v85
	v_dual_mul_f32 v116, 0x3f08b237, v116 :: v_dual_mul_f32 v117, 0x3f08b237, v117
	;; [unrolled: 1-line block ×3, first 2 shown]
	s_waitcnt lgkmcnt(2)
	v_dual_mul_f32 v124, 0xbf5ff5aa, v73 :: v_dual_add_f32 v39, v121, v87
	v_dual_mul_f32 v89, 0x3f4a47b2, v89 :: v_dual_add_f32 v2, v46, v2
	;; [unrolled: 1-line block ×5, first 2 shown]
	v_dual_fmamk_f32 v99, v99, 0x3d64c772, v41 :: v_dual_fmamk_f32 v44, v44, 0x3d64c772, v42
	v_fma_f32 v100, 0x3f3bfb3b, v97, -v100
	v_fma_f32 v41, 0xbf3bfb3b, v97, -v41
	;; [unrolled: 1-line block ×6, first 2 shown]
	v_fmamk_f32 v102, v69, 0xbeae86e6, v102
	v_fma_f32 v104, 0x3eae86e6, v69, -v111
	v_fmamk_f32 v111, v70, 0xbeae86e6, v117
	v_dual_fmamk_f32 v45, v78, 0x3d64c772, v75 :: v_dual_fmamk_f32 v78, v79, 0x3d64c772, v76
	v_fmamk_f32 v101, v57, 0xbeae86e6, v101
	v_fma_f32 v57, 0x3eae86e6, v57, -v110
	v_fma_f32 v69, 0x3f3bfb3b, v106, -v112
	v_fma_f32 v75, 0xbf3bfb3b, v106, -v75
	v_fma_f32 v79, 0x3f3bfb3b, v109, -v115
	v_fma_f32 v76, 0xbf3bfb3b, v109, -v76
	v_fma_f32 v106, 0xbf5ff5aa, v80, -v116
	v_fma_f32 v110, 0xbf5ff5aa, v73, -v117
	v_fma_f32 v112, 0x3eae86e6, v70, -v124
	v_fma_f32 v117, 0xbf5ff5aa, v74, -v125
	v_dual_fmamk_f32 v46, v46, 0xbf955555, v2 :: v_dual_fmamk_f32 v47, v47, 0xbf955555, v3
	v_mul_f32_e32 v128, 0xbf5ff5aa, v91
	v_fmamk_f32 v109, v88, 0xbeae86e6, v116
	v_fma_f32 v88, 0x3eae86e6, v88, -v118
	v_fmamk_f32 v74, v86, 0xbf955555, v38
	v_fmamk_f32 v70, v82, 0x3d64c772, v85
	v_fma_f32 v73, 0x3f3bfb3b, v113, -v126
	v_fma_f32 v113, 0xbf3bfb3b, v113, -v85
	v_fmamk_f32 v80, v90, 0x3d64c772, v89
	v_fma_f32 v82, 0x3f3bfb3b, v114, -v127
	v_fma_f32 v89, 0xbf3bfb3b, v114, -v89
	;; [unrolled: 1-line block ×3, first 2 shown]
	v_dual_fmamk_f32 v118, v84, 0xbeae86e6, v125 :: v_dual_add_f32 v85, v41, v46
	v_fma_f32 v119, 0x3eae86e6, v84, -v129
	v_dual_fmac_f32 v98, 0xbee1c552, v43 :: v_dual_fmac_f32 v111, 0xbee1c552, v96
	v_dual_fmac_f32 v57, 0xbee1c552, v43 :: v_dual_fmac_f32 v88, 0xbee1c552, v77
	v_fmac_f32_e32 v106, 0xbee1c552, v77
	v_fmac_f32_e32 v112, 0xbee1c552, v96
	v_dual_fmamk_f32 v90, v87, 0xbf955555, v39 :: v_dual_fmamk_f32 v91, v92, 0xbf955555, v40
	v_add_f32_e32 v84, v97, v47
	v_dual_fmac_f32 v102, 0xbee1c552, v95 :: v_dual_fmac_f32 v109, 0xbee1c552, v77
	v_add_f32_e32 v77, v99, v46
	v_fma_f32 v116, 0x3eae86e6, v83, -v128
	v_dual_add_f32 v92, v78, v74 :: v_dual_fmac_f32 v101, 0xbee1c552, v43
	v_fmamk_f32 v43, v81, 0xbf955555, v37
	v_dual_add_f32 v81, v44, v47 :: v_dual_add_f32 v120, v70, v90
	v_add_f32_e32 v47, v42, v47
	s_delay_alu instid0(VALU_DEP_3)
	v_dual_fmamk_f32 v115, v83, 0xbeae86e6, v123 :: v_dual_add_f32 v86, v69, v43
	v_dual_fmac_f32 v103, 0xbee1c552, v95 :: v_dual_fmac_f32 v110, 0xbee1c552, v96
	v_add_f32_e32 v83, v100, v46
	v_add_f32_e32 v87, v45, v43
	v_dual_fmac_f32 v104, 0xbee1c552, v95 :: v_dual_add_f32 v95, v79, v74
	v_dual_add_f32 v96, v75, v43 :: v_dual_add_f32 v97, v76, v74
	v_dual_add_f32 v99, v73, v90 :: v_dual_add_f32 v100, v82, v91
	s_delay_alu instid0(VALU_DEP_3) | instskip(NEXT) | instid1(VALU_DEP_3)
	v_dual_sub_f32 v44, v47, v57 :: v_dual_sub_f32 v73, v85, v104
	v_dual_add_f32 v74, v57, v47 :: v_dual_add_f32 v79, v112, v96
	v_dual_add_f32 v47, v113, v90 :: v_dual_fmac_f32 v114, 0xbee1c552, v71
	v_add_f32_e32 v57, v89, v91
	v_dual_fmac_f32 v119, 0xbee1c552, v72 :: v_dual_fmac_f32 v116, 0xbee1c552, v71
	v_dual_add_f32 v121, v80, v91 :: v_dual_sub_f32 v42, v81, v101
	v_dual_add_f32 v41, v102, v77 :: v_dual_sub_f32 v70, v84, v98
	v_dual_add_f32 v43, v104, v85 :: v_dual_add_f32 v46, v98, v84
	v_dual_sub_f32 v45, v83, v103 :: v_dual_add_f32 v76, v101, v81
	v_dual_add_f32 v69, v103, v83 :: v_dual_sub_f32 v78, v92, v109
	v_dual_sub_f32 v75, v77, v102 :: v_dual_add_f32 v82, v106, v95
	v_dual_add_f32 v77, v111, v87 :: v_dual_sub_f32 v80, v97, v88
	v_sub_f32_e32 v81, v86, v110
	v_add_f32_e32 v83, v110, v86
	v_dual_sub_f32 v84, v95, v106 :: v_dual_sub_f32 v85, v96, v112
	v_dual_add_f32 v86, v88, v97 :: v_dual_sub_f32 v87, v87, v111
	v_fmac_f32_e32 v118, 0xbee1c552, v72
	v_add_f32_e32 v88, v109, v92
	v_dual_add_f32 v96, v114, v100 :: v_dual_fmac_f32 v115, 0xbee1c552, v71
	v_sub_f32_e32 v92, v57, v116
	v_fmac_f32_e32 v117, 0xbee1c552, v72
	v_dual_add_f32 v89, v118, v120 :: v_dual_sub_f32 v98, v100, v114
	s_delay_alu instid0(VALU_DEP_4) | instskip(SKIP_1) | instid1(VALU_DEP_4)
	v_sub_f32_e32 v90, v121, v115
	v_dual_add_f32 v91, v119, v47 :: v_dual_add_f32 v100, v116, v57
	v_sub_f32_e32 v95, v99, v117
	v_dual_add_f32 v97, v117, v99 :: v_dual_add_f32 v102, v115, v121
	v_sub_f32_e32 v99, v47, v119
	v_add_f32_e32 v47, v24, v36
	v_add_f32_e32 v57, v32, v105
	v_sub_f32_e32 v24, v24, v36
	v_dual_add_f32 v36, v23, v34 :: v_dual_add_f32 v71, v29, v108
	v_dual_sub_f32 v101, v120, v118 :: v_dual_add_f32 v72, v107, v35
	s_delay_alu instid0(VALU_DEP_2)
	v_dual_sub_f32 v23, v23, v34 :: v_dual_sub_f32 v104, v36, v47
	v_dual_sub_f32 v29, v29, v108 :: v_dual_add_f32 v34, v28, v30
	v_sub_f32_e32 v28, v30, v28
	v_sub_f32_e32 v30, v35, v107
	v_add_f32_e32 v35, v36, v47
	v_add_f32_e32 v103, v71, v57
	v_sub_f32_e32 v32, v32, v105
	v_dual_add_f32 v106, v28, v23 :: v_dual_sub_f32 v105, v71, v57
	v_dual_sub_f32 v108, v28, v23 :: v_dual_sub_f32 v47, v47, v34
	v_sub_f32_e32 v28, v24, v28
	v_sub_f32_e32 v36, v34, v36
	v_dual_sub_f32 v23, v23, v24 :: v_dual_add_f32 v34, v34, v35
	v_add_f32_e32 v35, v72, v103
	v_sub_f32_e32 v57, v57, v72
	v_dual_sub_f32 v71, v72, v71 :: v_dual_add_f32 v24, v106, v24
	s_waitcnt lgkmcnt(1)
	v_dual_add_f32 v107, v30, v29 :: v_dual_add_f32 v4, v4, v34
	v_dual_mul_f32 v72, 0x3d64c772, v36 :: v_dual_add_f32 v5, v5, v35
	v_dual_mul_f32 v106, 0x3f08b237, v108 :: v_dual_sub_f32 v109, v30, v29
	s_delay_alu instid0(VALU_DEP_3) | instskip(NEXT) | instid1(VALU_DEP_3)
	v_fmamk_f32 v34, v34, 0xbf955555, v4
	v_dual_sub_f32 v30, v32, v30 :: v_dual_fmamk_f32 v35, v35, 0xbf955555, v5
	v_mul_f32_e32 v47, 0x3f4a47b2, v47
	v_mul_f32_e32 v103, 0x3d64c772, v71
	v_fma_f32 v72, 0x3f3bfb3b, v104, -v72
	v_mul_f32_e32 v57, 0x3f4a47b2, v57
	v_dual_sub_f32 v29, v29, v32 :: v_dual_mul_f32 v108, 0xbf5ff5aa, v23
	v_fmamk_f32 v36, v36, 0x3d64c772, v47
	v_fmamk_f32 v110, v28, 0xbeae86e6, v106
	s_delay_alu instid0(VALU_DEP_4) | instskip(SKIP_1) | instid1(VALU_DEP_4)
	v_dual_add_f32 v72, v72, v34 :: v_dual_fmamk_f32 v71, v71, 0x3d64c772, v57
	v_add_f32_e32 v32, v107, v32
	v_add_f32_e32 v36, v36, v34
	v_fma_f32 v47, 0xbf3bfb3b, v104, -v47
	v_fma_f32 v104, 0xbf5ff5aa, v23, -v106
	;; [unrolled: 1-line block ×4, first 2 shown]
	v_dual_add_f32 v71, v71, v35 :: v_dual_fmac_f32 v110, 0xbee1c552, v24
	v_mul_f32_e32 v107, 0x3f08b237, v109
	v_dual_add_f32 v47, v47, v34 :: v_dual_fmac_f32 v104, 0xbee1c552, v24
	v_mul_f32_e32 v109, 0xbf5ff5aa, v29
	v_fma_f32 v103, 0x3f3bfb3b, v105, -v103
	v_dual_add_f32 v57, v57, v35 :: v_dual_fmac_f32 v106, 0xbee1c552, v24
	v_dual_sub_f32 v24, v71, v110 :: v_dual_fmamk_f32 v111, v30, 0xbeae86e6, v107
	v_fma_f32 v105, 0xbf5ff5aa, v29, -v107
	v_fma_f32 v30, 0x3eae86e6, v30, -v109
	v_add_f32_e32 v107, v103, v35
	s_delay_alu instid0(VALU_DEP_4) | instskip(NEXT) | instid1(VALU_DEP_4)
	v_dual_add_f32 v108, v110, v71 :: v_dual_fmac_f32 v111, 0xbee1c552, v32
	v_fmac_f32_e32 v105, 0xbee1c552, v32
	s_delay_alu instid0(VALU_DEP_4) | instskip(NEXT) | instid1(VALU_DEP_4)
	v_dual_fmac_f32 v30, 0xbee1c552, v32 :: v_dual_sub_f32 v29, v57, v106
	v_dual_add_f32 v35, v104, v107 :: v_dual_add_f32 v32, v19, v33
	s_delay_alu instid0(VALU_DEP_3) | instskip(NEXT) | instid1(VALU_DEP_3)
	v_sub_f32_e32 v34, v72, v105
	v_dual_add_f32 v28, v30, v47 :: v_dual_add_f32 v103, v105, v72
	v_sub_f32_e32 v104, v107, v104
	v_dual_sub_f32 v105, v47, v30 :: v_dual_add_f32 v106, v106, v57
	v_add_f32_e32 v23, v111, v36
	v_sub_f32_e32 v107, v36, v111
	v_add_f32_e32 v30, v15, v27
	v_sub_f32_e32 v19, v19, v33
	v_add_f32_e32 v33, v21, v31
	v_sub_f32_e32 v15, v15, v27
	v_add_f32_e32 v27, v16, v22
	v_sub_f32_e32 v16, v16, v22
	v_dual_add_f32 v22, v17, v18 :: v_dual_sub_f32 v17, v18, v17
	v_dual_sub_f32 v18, v26, v25 :: v_dual_sub_f32 v21, v21, v31
	v_add_f32_e32 v31, v25, v26
	s_waitcnt lgkmcnt(0)
	s_delay_alu instid0(VALU_DEP_3)
	v_add_f32_e32 v57, v17, v16
	v_sub_f32_e32 v72, v17, v16
	v_sub_f32_e32 v36, v27, v30
	v_add_f32_e32 v26, v33, v32
	v_dual_sub_f32 v47, v33, v32 :: v_dual_sub_f32 v16, v16, v15
	v_dual_sub_f32 v32, v32, v31 :: v_dual_add_f32 v25, v27, v30
	v_sub_f32_e32 v30, v30, v22
	v_sub_f32_e32 v27, v22, v27
	;; [unrolled: 1-line block ×3, first 2 shown]
	v_add_f32_e32 v71, v18, v21
	v_dual_add_f32 v22, v22, v25 :: v_dual_add_f32 v25, v31, v26
	v_mul_f32_e32 v26, 0x3f4a47b2, v30
	v_mul_f32_e32 v30, 0x3f4a47b2, v32
	;; [unrolled: 1-line block ×3, first 2 shown]
	s_delay_alu instid0(VALU_DEP_4) | instskip(SKIP_3) | instid1(VALU_DEP_4)
	v_dual_add_f32 v0, v0, v22 :: v_dual_sub_f32 v17, v15, v17
	v_mul_f32_e32 v31, 0x3d64c772, v27
	v_fmamk_f32 v27, v27, 0x3d64c772, v26
	v_fma_f32 v26, 0xbf3bfb3b, v36, -v26
	v_dual_fmamk_f32 v22, v22, 0xbf955555, v0 :: v_dual_add_f32 v15, v57, v15
	s_delay_alu instid0(VALU_DEP_4) | instskip(SKIP_1) | instid1(VALU_DEP_3)
	v_fma_f32 v31, 0x3f3bfb3b, v36, -v31
	v_fma_f32 v32, 0x3f3bfb3b, v47, -v32
	v_dual_fmamk_f32 v33, v33, 0x3d64c772, v30 :: v_dual_add_f32 v110, v26, v22
	v_mul_f32_e32 v57, 0x3f08b237, v72
	v_dual_sub_f32 v109, v18, v21 :: v_dual_mul_f32 v72, 0xbf5ff5aa, v16
	v_sub_f32_e32 v18, v19, v18
	v_fma_f32 v30, 0xbf3bfb3b, v47, -v30
	s_delay_alu instid0(VALU_DEP_4) | instskip(SKIP_3) | instid1(VALU_DEP_4)
	v_fmamk_f32 v36, v17, 0xbeae86e6, v57
	v_fma_f32 v57, 0xbf5ff5aa, v16, -v57
	v_fma_f32 v72, 0x3eae86e6, v17, -v72
	v_add_f32_e32 v27, v27, v22
	v_dual_add_f32 v31, v31, v22 :: v_dual_fmac_f32 v36, 0xbee1c552, v15
	s_delay_alu instid0(VALU_DEP_3) | instskip(SKIP_4) | instid1(VALU_DEP_1)
	v_dual_add_f32 v1, v1, v25 :: v_dual_fmac_f32 v72, 0xbee1c552, v15
	v_fmac_f32_e32 v57, 0xbee1c552, v15
	s_barrier
	buffer_gl0_inv
	v_fmamk_f32 v25, v25, 0xbf955555, v1
	v_dual_sub_f32 v21, v21, v19 :: v_dual_add_f32 v32, v32, v25
	s_delay_alu instid0(VALU_DEP_1) | instskip(SKIP_3) | instid1(VALU_DEP_3)
	v_sub_f32_e32 v26, v32, v57
	v_add_f32_e32 v33, v33, v25
	v_add_f32_e32 v19, v71, v19
	v_dual_mul_f32 v71, 0x3f08b237, v109 :: v_dual_add_f32 v22, v57, v32
	v_dual_mul_f32 v109, 0xbf5ff5aa, v21 :: v_dual_sub_f32 v16, v33, v36
	v_add_f32_e32 v111, v30, v25
	s_delay_alu instid0(VALU_DEP_3) | instskip(SKIP_1) | instid1(VALU_DEP_4)
	v_fmamk_f32 v47, v18, 0xbeae86e6, v71
	v_fma_f32 v71, 0xbf5ff5aa, v21, -v71
	v_fma_f32 v109, 0x3eae86e6, v18, -v109
	s_delay_alu instid0(VALU_DEP_3) | instskip(NEXT) | instid1(VALU_DEP_3)
	v_dual_sub_f32 v18, v111, v72 :: v_dual_fmac_f32 v47, 0xbee1c552, v19
	v_fmac_f32_e32 v71, 0xbee1c552, v19
	s_delay_alu instid0(VALU_DEP_3) | instskip(SKIP_1) | instid1(VALU_DEP_4)
	v_fmac_f32_e32 v109, 0xbee1c552, v19
	v_lshrrev_b32_e32 v19, 2, v48
	v_add_f32_e32 v15, v47, v27
	s_delay_alu instid0(VALU_DEP_4)
	v_sub_f32_e32 v21, v31, v71
	v_add_f32_e32 v25, v71, v31
	v_lshrrev_b32_e32 v71, 2, v56
	v_mul_u32_u24_e32 v19, 28, v19
	v_add_f32_e32 v31, v72, v111
	v_add_f32_e32 v72, v36, v33
	v_lshrrev_b32_e32 v33, 2, v65
	v_mul_lo_u32 v32, v71, 28
	v_or_b32_e32 v19, v19, v14
	v_sub_f32_e32 v71, v27, v47
	v_lshrrev_b32_e32 v27, 2, v66
	v_dual_add_f32 v17, v109, v110 :: v_dual_sub_f32 v30, v110, v109
	s_delay_alu instid0(VALU_DEP_4)
	v_lshl_add_u32 v19, v19, 3, 0
	ds_store_2addr_b64 v19, v[2:3], v[41:42] offset1:4
	ds_store_2addr_b64 v19, v[43:44], v[45:46] offset0:8 offset1:12
	v_or_b32_e32 v32, v32, v14
	v_mul_lo_u32 v27, v27, 28
	v_lshrrev_b32_e32 v3, 2, v64
	ds_store_2addr_b64 v19, v[69:70], v[73:74] offset0:16 offset1:20
	ds_store_b64 v19, v[75:76] offset:192
	v_lshl_add_u32 v2, v32, 3, 0
	v_mul_lo_u32 v32, v33, 28
	v_mul_lo_u32 v3, v3, 28
	v_or_b32_e32 v27, v27, v14
	ds_store_2addr_b64 v2, v[37:38], v[77:78] offset1:4
	ds_store_2addr_b64 v2, v[79:80], v[81:82] offset0:8 offset1:12
	v_lshl_add_u32 v19, v27, 3, 0
	v_or_b32_e32 v27, v32, v14
	ds_store_2addr_b64 v2, v[83:84], v[85:86] offset0:16 offset1:20
	ds_store_b64 v2, v[87:88] offset:192
	ds_store_2addr_b64 v19, v[39:40], v[89:90] offset1:4
	v_or_b32_e32 v2, v3, v14
	ds_store_2addr_b64 v19, v[91:92], v[95:96] offset0:8 offset1:12
	ds_store_2addr_b64 v19, v[97:98], v[99:100] offset0:16 offset1:20
	ds_store_b64 v19, v[101:102] offset:192
	v_lshl_add_u32 v3, v27, 3, 0
	v_lshl_add_u32 v96, v62, 3, 0
	;; [unrolled: 1-line block ×4, first 2 shown]
	ds_store_2addr_b64 v3, v[4:5], v[23:24] offset1:4
	ds_store_2addr_b64 v3, v[28:29], v[34:35] offset0:8 offset1:12
	ds_store_2addr_b64 v3, v[103:104], v[105:106] offset0:16 offset1:20
	ds_store_b64 v3, v[107:108] offset:192
	ds_store_2addr_b64 v2, v[0:1], v[15:16] offset1:4
	ds_store_2addr_b64 v2, v[17:18], v[21:22] offset0:8 offset1:12
	ds_store_2addr_b64 v2, v[25:26], v[30:31] offset0:16 offset1:20
	ds_store_b64 v2, v[71:72] offset:192
	v_add_nc_u32_e32 v0, 0xc00, v93
	s_waitcnt lgkmcnt(0)
	s_barrier
	buffer_gl0_inv
	ds_load_b64 v[75:76], v93
	ds_load_b32 v57, v93 offset:7844
	ds_load_b64 v[91:92], v93 offset:7840
	ds_load_2addr_b64 v[44:47], v9 offset0:12 offset1:68
	ds_load_2addr_b64 v[40:43], v9 offset0:124 offset1:180
	s_waitcnt lgkmcnt(2)
	v_lshl_add_u32 v92, v60, 3, 0
	v_add_nc_u32_e32 v1, 0x1400, v93
	ds_load_b64 v[89:90], v94
	ds_load_b64 v[87:88], v59
	;; [unrolled: 1-line block ×4, first 2 shown]
	ds_load_2addr_b64 v[28:31], v11 offset0:108 offset1:164
	ds_load_b64 v[81:82], v96
	ds_load_b64 v[79:80], v95
	ds_load_2addr_b64 v[32:35], v8 offset0:92 offset1:148
	ds_load_b64 v[85:86], v10
	ds_load_b64 v[83:84], v92
	ds_load_2addr_b64 v[8:11], v0 offset0:120 offset1:176
	ds_load_2addr_b64 v[36:39], v7 offset0:76 offset1:132
	;; [unrolled: 1-line block ×8, first 2 shown]
	s_and_saveexec_b32 s1, s0
	s_cbranch_execz .LBB0_17
; %bb.16:
	ds_load_b64 v[71:72], v93 offset:7616
	ds_load_b64 v[67:68], v93 offset:15456
.LBB0_17:
	s_or_b32 exec_lo, exec_lo, s1
	v_lshrrev_b16 v69, 2, v56
	v_lshrrev_b16 v70, 2, v66
	;; [unrolled: 1-line block ×5, first 2 shown]
	v_and_b32_e32 v69, 63, v69
	v_and_b32_e32 v70, 63, v70
	v_lshrrev_b16 v106, 2, v60
	v_add_nc_u16 v116, v48, 0x230
	v_and_b32_e32 v108, 0xffff, v105
	v_mul_lo_u16 v69, v69, 37
	v_mul_lo_u16 v70, v70, 37
	v_add_nc_u16 v112, v48, 0x1f8
	v_lshrrev_b16 v109, 2, v116
	v_mul_u32_u24_e32 v108, 0x4925, v108
	v_lshrrev_b16 v104, 8, v69
	v_and_b32_e32 v69, 63, v97
	v_lshrrev_b16 v103, 8, v70
	v_and_b32_e32 v70, 0xffff, v98
	v_and_b32_e32 v111, 0xffff, v109
	v_mul_lo_u16 v97, v104, 28
	v_mul_lo_u16 v69, v69, 37
	;; [unrolled: 1-line block ×3, first 2 shown]
	v_mul_u32_u24_e32 v70, 0x4925, v70
	v_lshrrev_b32_e32 v108, 17, v108
	v_sub_nc_u16 v99, v56, v97
	v_lshrrev_b16 v97, 8, v69
	v_sub_nc_u16 v69, v66, v98
	v_lshrrev_b32_e32 v98, 17, v70
	v_mul_lo_u16 v113, v108, 28
	v_and_b32_e32 v70, 0xff, v99
	v_mul_lo_u16 v100, v97, 28
	v_and_b32_e32 v69, 0xff, v69
	v_mul_lo_u16 v101, v98, 28
	v_mul_u32_u24_e32 v114, 0x4925, v111
	v_lshlrev_b32_e32 v99, 3, v70
	v_sub_nc_u16 v70, v65, v100
	v_lshlrev_b32_e32 v100, 3, v69
	v_sub_nc_u16 v69, v64, v101
	v_sub_nc_u16 v115, v61, v113
	global_load_b64 v[117:118], v99, s[4:5] offset:192
	v_and_b32_e32 v70, 0xff, v70
	global_load_b64 v[119:120], v100, s[4:5] offset:192
	v_and_b32_e32 v69, 0xffff, v69
	v_add_nc_u16 v139, v48, 0x268
	v_add_nc_u16 v140, v48, 0x2a0
	v_lshlrev_b32_e32 v101, 3, v70
	v_lshrrev_b16 v70, 2, v62
	v_lshlrev_b32_e32 v102, 3, v69
	v_lshrrev_b16 v69, 2, v63
	s_clause 0x1
	global_load_b64 v[121:122], v101, s[4:5] offset:192
	global_load_b64 v[123:124], v102, s[4:5] offset:192
	v_add_nc_u16 v142, v48, 0x2d8
	s_waitcnt vmcnt(3) lgkmcnt(19)
	v_mul_f32_e32 v141, v118, v45
	s_waitcnt vmcnt(2)
	v_dual_mul_f32 v118, v118, v44 :: v_dual_mul_f32 v143, v120, v47
	s_delay_alu instid0(VALU_DEP_2) | instskip(NEXT) | instid1(VALU_DEP_2)
	v_dual_mul_f32 v120, v120, v46 :: v_dual_fmac_f32 v141, v117, v44
	v_fma_f32 v117, v117, v45, -v118
	s_delay_alu instid0(VALU_DEP_3) | instskip(NEXT) | instid1(VALU_DEP_3)
	v_fmac_f32_e32 v143, v119, v46
	v_fma_f32 v118, v119, v47, -v120
	v_add_nc_u16 v44, v48, 0x310
	v_lshrrev_b16 v45, 2, v58
	s_waitcnt vmcnt(1) lgkmcnt(18)
	v_mul_f32_e32 v47, v122, v40
	v_dual_mul_f32 v119, v122, v41 :: v_dual_and_b32 v70, 0xffff, v70
	s_waitcnt vmcnt(0)
	v_dual_mul_f32 v122, v124, v43 :: v_dual_and_b32 v69, 0xffff, v69
	v_add_nc_u16 v46, v48, 0x348
	s_delay_alu instid0(VALU_DEP_3) | instskip(SKIP_1) | instid1(VALU_DEP_4)
	v_fmac_f32_e32 v119, v121, v40
	v_mul_u32_u24_e32 v70, 0x4925, v70
	v_fmac_f32_e32 v122, v123, v42
	v_mul_u32_u24_e32 v69, 0x4925, v69
	v_lshrrev_b16 v120, 2, v139
	v_mul_f32_e32 v124, v124, v42
	v_lshrrev_b32_e32 v107, 17, v70
	v_fma_f32 v121, v121, v41, -v47
	v_lshrrev_b32_e32 v105, 17, v69
	v_and_b32_e32 v69, 0xffff, v106
	v_lshrrev_b16 v106, 2, v112
	v_mul_lo_u16 v110, v107, 28
	v_lshrrev_b16 v40, 2, v140
	v_mul_lo_u16 v70, v105, 28
	v_mul_u32_u24_e32 v69, 0x4925, v69
	v_fma_f32 v123, v123, v43, -v124
	v_lshrrev_b16 v42, 2, v44
	v_and_b32_e32 v40, 0xffff, v40
	v_sub_nc_u16 v70, v63, v70
	v_lshrrev_b32_e32 v109, 17, v69
	v_sub_nc_u16 v69, v62, v110
	v_and_b32_e32 v42, 0xffff, v42
	v_mul_u32_u24_e32 v40, 0x4925, v40
	v_and_b32_e32 v70, 0xffff, v70
	v_lshrrev_b16 v41, 2, v142
	v_and_b32_e32 v69, 0xffff, v69
	v_mul_u32_u24_e32 v42, 0x4925, v42
	v_lshrrev_b32_e32 v144, 17, v40
	v_lshlrev_b32_e32 v111, 3, v70
	v_mul_lo_u16 v70, v109, 28
	v_lshlrev_b32_e32 v113, 3, v69
	v_lshrrev_b32_e32 v146, 17, v42
	v_mul_lo_u16 v42, v144, 28
	global_load_b64 v[125:126], v111, s[4:5] offset:192
	v_sub_nc_u16 v69, v60, v70
	global_load_b64 v[127:128], v113, s[4:5] offset:192
	v_and_b32_e32 v106, 0xffff, v106
	v_and_b32_e32 v70, 0xffff, v115
	v_sub_nc_u16 v42, v140, v42
	v_and_b32_e32 v69, 0xffff, v69
	s_delay_alu instid0(VALU_DEP_4) | instskip(NEXT) | instid1(VALU_DEP_1)
	v_mul_u32_u24_e32 v106, 0x4925, v106
	v_lshrrev_b32_e32 v110, 17, v106
	v_lshrrev_b32_e32 v106, 17, v114
	v_lshlrev_b32_e32 v114, 3, v70
	s_delay_alu instid0(VALU_DEP_3) | instskip(NEXT) | instid1(VALU_DEP_3)
	v_mul_lo_u16 v115, v110, 28
	v_mul_lo_u16 v129, v106, 28
	s_delay_alu instid0(VALU_DEP_2) | instskip(SKIP_1) | instid1(VALU_DEP_3)
	v_sub_nc_u16 v70, v112, v115
	v_lshlrev_b32_e32 v115, 3, v69
	v_sub_nc_u16 v69, v116, v129
	global_load_b64 v[129:130], v114, s[4:5] offset:192
	v_and_b32_e32 v70, 0xffff, v70
	global_load_b64 v[131:132], v115, s[4:5] offset:192
	v_and_b32_e32 v69, 0xffff, v69
	v_lshlrev_b32_e32 v116, 3, v70
	v_mov_b32_e32 v70, 0
	s_delay_alu instid0(VALU_DEP_3)
	v_lshlrev_b32_e32 v112, 3, v69
	s_clause 0x1
	global_load_b64 v[133:134], v116, s[4:5] offset:192
	global_load_b64 v[135:136], v112, s[4:5] offset:192
	v_and_b32_e32 v43, 0xffff, v45
	v_lshrrev_b16 v45, 2, v46
	v_subrev_nc_u32_e32 v69, 28, v48
	s_delay_alu instid0(VALU_DEP_3) | instskip(NEXT) | instid1(VALU_DEP_3)
	v_mul_u32_u24_e32 v43, 0x4925, v43
	v_and_b32_e32 v45, 0xffff, v45
	s_delay_alu instid0(VALU_DEP_3) | instskip(NEXT) | instid1(VALU_DEP_1)
	v_cndmask_b32_e64 v69, v69, v48, s0
	v_lshlrev_b64 v[137:138], 3, v[69:70]
	s_delay_alu instid0(VALU_DEP_1) | instskip(NEXT) | instid1(VALU_DEP_1)
	v_add_co_u32 v137, s1, s4, v137
	v_add_co_ci_u32_e64 v138, s1, s5, v138, s1
	v_cmp_lt_u32_e64 s1, 27, v48
	global_load_b64 v[137:138], v[137:138], off offset:192
	s_waitcnt vmcnt(5) lgkmcnt(13)
	v_mul_f32_e32 v140, v128, v31
	s_delay_alu instid0(VALU_DEP_1) | instskip(SKIP_3) | instid1(VALU_DEP_1)
	v_fmac_f32_e32 v140, v127, v30
	s_waitcnt vmcnt(4) lgkmcnt(10)
	v_mul_f32_e32 v149, v33, v130
	s_waitcnt vmcnt(2) lgkmcnt(6)
	v_dual_fmac_f32 v149, v32, v129 :: v_dual_mul_f32 v150, v37, v134
	v_and_b32_e32 v47, 0xffff, v120
	v_lshrrev_b32_e32 v120, 17, v43
	v_mul_u32_u24_e32 v43, 0x4925, v45
	v_mul_lo_u16 v45, v146, 28
	v_fmac_f32_e32 v150, v36, v133
	v_mul_u32_u24_e32 v47, 0x4925, v47
	s_delay_alu instid0(VALU_DEP_4) | instskip(NEXT) | instid1(VALU_DEP_4)
	v_lshrrev_b32_e32 v147, 17, v43
	v_sub_nc_u16 v44, v44, v45
	s_delay_alu instid0(VALU_DEP_3) | instskip(NEXT) | instid1(VALU_DEP_3)
	v_lshrrev_b32_e32 v124, 17, v47
	v_mul_lo_u16 v47, v147, 28
	s_delay_alu instid0(VALU_DEP_3) | instskip(NEXT) | instid1(VALU_DEP_3)
	v_and_b32_e32 v44, 0xffff, v44
	v_mul_lo_u16 v40, v124, 28
	s_delay_alu instid0(VALU_DEP_3) | instskip(SKIP_1) | instid1(VALU_DEP_3)
	v_sub_nc_u16 v45, v46, v47
	v_mul_f32_e32 v46, v126, v28
	v_sub_nc_u16 v40, v139, v40
	v_mul_f32_e32 v139, v126, v29
	s_delay_alu instid0(VALU_DEP_4) | instskip(NEXT) | instid1(VALU_DEP_3)
	v_and_b32_e32 v47, 0xffff, v45
	v_and_b32_e32 v40, 0xffff, v40
	s_delay_alu instid0(VALU_DEP_3) | instskip(SKIP_2) | instid1(VALU_DEP_4)
	v_dual_fmac_f32 v139, v125, v28 :: v_dual_mul_f32 v28, v128, v30
	v_fma_f32 v125, v125, v29, -v46
	v_mul_f32_e32 v29, v34, v132
	v_lshlrev_b32_e32 v128, 3, v40
	s_delay_alu instid0(VALU_DEP_4) | instskip(SKIP_4) | instid1(VALU_DEP_4)
	v_fma_f32 v127, v127, v31, -v28
	v_mul_f32_e32 v28, v32, v130
	v_mul_f32_e32 v130, v35, v132
	v_lshlrev_b32_e32 v132, 3, v44
	v_and_b32_e32 v31, 0xffff, v103
	v_fma_f32 v129, v33, v129, -v28
	v_mul_f32_e32 v28, v36, v134
	s_waitcnt vmcnt(1)
	v_dual_mul_f32 v134, v39, v136 :: v_dual_and_b32 v41, 0xffff, v41
	v_fmac_f32_e32 v130, v34, v131
	v_fma_f32 v131, v35, v131, -v29
	v_mul_f32_e32 v29, v38, v136
	s_delay_alu instid0(VALU_DEP_4)
	v_fmac_f32_e32 v134, v38, v135
	v_mul_u32_u24_e32 v41, 0x4925, v41
	v_fma_f32 v133, v37, v133, -v28
	v_cndmask_b32_e64 v28, 0, 0x1c0, s1
	v_fma_f32 v135, v39, v135, -v29
	v_mul_u32_u24_e32 v39, 0x1c0, v120
	v_lshrrev_b32_e32 v145, 17, v41
	v_mul_lo_u16 v41, v120, 28
	v_mul_u32_u24_e32 v34, 0x1c0, v109
	s_delay_alu instid0(VALU_DEP_3) | instskip(NEXT) | instid1(VALU_DEP_3)
	v_mul_lo_u16 v43, v145, 28
	v_sub_nc_u16 v41, v58, v41
	s_delay_alu instid0(VALU_DEP_2) | instskip(NEXT) | instid1(VALU_DEP_2)
	v_sub_nc_u16 v43, v142, v43
	v_and_b32_e32 v41, 0xffff, v41
	s_delay_alu instid0(VALU_DEP_2) | instskip(NEXT) | instid1(VALU_DEP_2)
	v_and_b32_e32 v43, 0xffff, v43
	v_lshlrev_b32_e32 v126, 3, v41
	global_load_b64 v[40:41], v128, s[4:5] offset:192
	v_and_b32_e32 v42, 0xffff, v42
	v_lshlrev_b32_e32 v29, 3, v69
	v_lshlrev_b32_e32 v148, 3, v43
	v_mul_u32_u24_e32 v69, 0x1c0, v110
	s_delay_alu instid0(VALU_DEP_4)
	v_lshlrev_b32_e32 v142, 3, v42
	s_clause 0x2
	global_load_b64 v[42:43], v142, s[4:5] offset:192
	global_load_b64 v[44:45], v126, s[4:5] offset:192
	;; [unrolled: 1-line block ×3, first 2 shown]
	v_and_b32_e32 v30, 0xffff, v104
	v_add3_u32 v136, 0, v28, v29
	v_and_b32_e32 v28, 0xffff, v97
	v_mul_u32_u24_e32 v97, 0x1c0, v144
	s_delay_alu instid0(VALU_DEP_4) | instskip(SKIP_1) | instid1(VALU_DEP_4)
	v_mul_u32_u24_e32 v29, 0x1c0, v30
	v_mul_u32_u24_e32 v30, 0x1c0, v31
	;; [unrolled: 1-line block ×5, first 2 shown]
	v_add3_u32 v152, 0, v29, v99
	v_add3_u32 v153, 0, v30, v100
	v_mul_u32_u24_e32 v30, 0x1c0, v107
	v_add3_u32 v107, 0, v28, v101
	v_mul_u32_u24_e32 v28, 0x1c0, v108
	v_mul_u32_u24_e32 v29, 0x1c0, v105
	v_mul_u32_u24_e32 v99, 0x1c0, v146
	v_add3_u32 v109, 0, v30, v113
	v_add3_u32 v154, 0, v31, v102
	;; [unrolled: 1-line block ×7, first 2 shown]
	v_lshlrev_b32_e32 v31, 2, v66
	v_lshlrev_b32_e32 v30, 2, v65
	;; [unrolled: 1-line block ×4, first 2 shown]
	v_mul_u32_u24_e32 v34, 0x1c0, v106
	s_waitcnt vmcnt(3) lgkmcnt(4)
	v_mul_f32_e32 v97, v25, v41
	s_delay_alu instid0(VALU_DEP_1) | instskip(NEXT) | instid1(VALU_DEP_3)
	v_fmac_f32_e32 v97, v24, v40
	v_add3_u32 v112, 0, v34, v112
	v_mul_i32_i24_e32 v34, 0xffffffe8, v63
	s_waitcnt vmcnt(0) lgkmcnt(2)
	v_mul_f32_e32 v101, v17, v36
	v_dual_mul_f32 v36, v16, v36 :: v_dual_lshlrev_b32 v151, 3, v47
	s_clause 0x1
	global_load_b64 v[37:38], v132, s[4:5] offset:192
	global_load_b64 v[46:47], v151, s[4:5] offset:192
	v_add3_u32 v113, 0, v39, v126
	v_mul_u32_u24_e32 v39, 0x1c0, v124
	v_lshlrev_b32_e32 v33, 2, v48
	v_fmac_f32_e32 v101, v16, v35
	s_waitcnt vmcnt(0) lgkmcnt(0)
	s_barrier
	buffer_gl0_inv
	v_mul_f32_e32 v103, v19, v38
	v_add3_u32 v115, 0, v39, v128
	v_dual_mul_f32 v39, v24, v41 :: v_dual_mul_f32 v24, v26, v43
	v_mul_f32_e32 v105, v21, v47
	v_add3_u32 v124, 0, v99, v132
	v_mul_f32_e32 v99, v27, v43
	v_fmac_f32_e32 v103, v18, v37
	v_add3_u32 v120, 0, v98, v148
	v_fma_f32 v98, v25, v40, -v39
	v_mul_f32_e32 v25, v23, v45
	v_fmac_f32_e32 v99, v26, v42
	v_fma_f32 v100, v27, v42, -v24
	v_mul_f32_e32 v24, v22, v45
	v_dual_mul_f32 v26, v57, v138 :: v_dual_mul_f32 v27, v138, v91
	v_fmac_f32_e32 v25, v22, v44
	v_mul_f32_e32 v22, v18, v38
	s_delay_alu instid0(VALU_DEP_4)
	v_fma_f32 v23, v23, v44, -v24
	v_mul_f32_e32 v24, v20, v47
	v_fmac_f32_e32 v26, v137, v91
	v_fma_f32 v27, v57, v137, -v27
	v_lshlrev_b32_e32 v32, 2, v56
	v_lshlrev_b32_e32 v69, 2, v62
	v_mul_u32_u24_e32 v41, 0x1c0, v147
	v_fma_f32 v47, v17, v35, -v36
	v_fma_f32 v57, v19, v37, -v22
	v_dual_sub_f32 v22, v14, v25 :: v_dual_fmac_f32 v105, v20, v46
	v_fma_f32 v91, v21, v46, -v24
	v_dual_sub_f32 v16, v75, v26 :: v_dual_sub_f32 v17, v76, v27
	v_sub_f32_e32 v18, v89, v141
	v_dual_sub_f32 v19, v90, v117 :: v_dual_sub_f32 v20, v87, v143
	v_dual_sub_f32 v21, v88, v118 :: v_dual_sub_f32 v24, v77, v119
	v_sub_f32_e32 v25, v78, v121
	v_dual_sub_f32 v23, v15, v23 :: v_dual_sub_f32 v26, v73, v122
	v_dual_sub_f32 v27, v74, v123 :: v_dual_sub_f32 v40, v80, v129
	v_dual_sub_f32 v35, v85, v139 :: v_dual_sub_f32 v36, v86, v125
	v_dual_sub_f32 v37, v81, v140 :: v_dual_sub_f32 v38, v82, v127
	v_dual_sub_f32 v39, v79, v149 :: v_dual_sub_f32 v42, v84, v131
	v_add3_u32 v126, 0, v41, v151
	v_sub_f32_e32 v41, v83, v130
	v_fma_f32 v43, v75, 2.0, -v16
	v_fma_f32 v44, v76, 2.0, -v17
	;; [unrolled: 1-line block ×6, first 2 shown]
	v_dual_sub_f32 v88, v9, v133 :: v_dual_sub_f32 v87, v8, v150
	v_dual_sub_f32 v90, v11, v135 :: v_dual_sub_f32 v89, v10, v134
	;; [unrolled: 1-line block ×4, first 2 shown]
	v_sub_f32_e32 v104, v3, v57
	v_dual_sub_f32 v101, v0, v101 :: v_dual_sub_f32 v102, v1, v47
	v_sub_f32_e32 v103, v2, v103
	v_dual_sub_f32 v105, v12, v105 :: v_dual_sub_f32 v106, v13, v91
	v_fma_f32 v77, v77, 2.0, -v24
	v_fma_f32 v78, v78, 2.0, -v25
	;; [unrolled: 1-line block ×14, first 2 shown]
	ds_store_2addr_b64 v136, v[43:44], v[16:17] offset1:28
	ds_store_2addr_b64 v152, v[45:46], v[18:19] offset1:28
	;; [unrolled: 1-line block ×3, first 2 shown]
	v_fma_f32 v8, v8, 2.0, -v87
	v_fma_f32 v9, v9, 2.0, -v88
	;; [unrolled: 1-line block ×14, first 2 shown]
	ds_store_2addr_b64 v107, v[77:78], v[24:25] offset1:28
	ds_store_2addr_b64 v154, v[73:74], v[26:27] offset1:28
	;; [unrolled: 1-line block ×14, first 2 shown]
	s_and_saveexec_b32 s1, s0
	s_cbranch_execz .LBB0_19
; %bb.18:
	v_add_nc_u16 v0, v48, 0x3b8
	s_delay_alu instid0(VALU_DEP_1) | instskip(NEXT) | instid1(VALU_DEP_1)
	v_lshrrev_b16 v1, 2, v0
	v_and_b32_e32 v1, 0xffff, v1
	s_delay_alu instid0(VALU_DEP_1) | instskip(NEXT) | instid1(VALU_DEP_1)
	v_mul_u32_u24_e32 v1, 0x4925, v1
	v_lshrrev_b32_e32 v1, 17, v1
	s_delay_alu instid0(VALU_DEP_1) | instskip(NEXT) | instid1(VALU_DEP_1)
	v_mul_lo_u16 v1, v1, 28
	v_sub_nc_u16 v0, v0, v1
	s_delay_alu instid0(VALU_DEP_1) | instskip(NEXT) | instid1(VALU_DEP_1)
	v_and_b32_e32 v0, 0xffff, v0
	v_lshlrev_b32_e32 v2, 3, v0
	global_load_b64 v[0:1], v2, s[4:5] offset:192
	s_waitcnt vmcnt(0)
	v_mul_f32_e32 v3, v67, v1
	v_mul_f32_e32 v4, v68, v1
	s_delay_alu instid0(VALU_DEP_2) | instskip(NEXT) | instid1(VALU_DEP_1)
	v_fma_f32 v1, v68, v0, -v3
	v_dual_fmac_f32 v4, v67, v0 :: v_dual_sub_f32 v1, v72, v1
	s_delay_alu instid0(VALU_DEP_1) | instskip(SKIP_1) | instid1(VALU_DEP_3)
	v_sub_f32_e32 v0, v71, v4
	v_add_nc_u32_e32 v4, 0, v2
	v_fma_f32 v3, v72, 2.0, -v1
	s_delay_alu instid0(VALU_DEP_3) | instskip(NEXT) | instid1(VALU_DEP_3)
	v_fma_f32 v2, v71, 2.0, -v0
	v_add_nc_u32_e32 v4, 0x3800, v4
	ds_store_2addr_b64 v4, v[2:3], v[0:1] offset0:112 offset1:140
.LBB0_19:
	s_or_b32 exec_lo, exec_lo, s1
	v_mul_u32_u24_e32 v0, 6, v48
	v_lshrrev_b16 v1, 3, v66
	v_lshrrev_b16 v2, 3, v65
	s_waitcnt lgkmcnt(0)
	s_barrier
	v_lshlrev_b32_e32 v0, 3, v0
	buffer_gl0_inv
	v_lshrrev_b16 v3, 3, v64
	s_add_u32 s2, s4, 0x3d20
	s_addc_u32 s3, s5, 0
	s_clause 0x1
	global_load_b128 v[39:42], v0, s[4:5] offset:416
	global_load_b128 v[43:46], v0, s[4:5] offset:432
	v_and_b32_e32 v1, 31, v1
	v_and_b32_e32 v2, 31, v2
	v_and_b32_e32 v3, 0xffff, v3
	v_add_nc_u32_e32 v38, v49, v34
	v_add_nc_u32_e32 v21, 0x1000, v93
	v_mul_lo_u16 v1, v1, 37
	v_mul_lo_u16 v2, v2, 37
	v_mul_u32_u24_e32 v3, 0x2493, v3
	v_add_nc_u32_e32 v22, 0x1800, v93
	v_add_nc_u32_e32 v27, 0x800, v93
	v_lshrrev_b16 v1, 8, v1
	v_lshrrev_b16 v2, 8, v2
	v_lshrrev_b32_e32 v3, 16, v3
	v_add_nc_u32_e32 v19, 0x2000, v93
	v_add_nc_u32_e32 v20, 0x2800, v93
	v_mul_lo_u16 v1, v1, 56
	v_mul_lo_u16 v2, v2, 56
	v_mul_lo_u16 v3, v3, 56
	v_add_nc_u32_e32 v23, 0x3000, v93
	v_add_nc_u32_e32 v47, 0x2400, v93
	v_sub_nc_u16 v1, v66, v1
	v_sub_nc_u16 v2, v65, v2
	v_add_nc_u32_e32 v18, 0x3800, v93
	v_add_nc_u32_e32 v49, 0x1c00, v93
	s_delay_alu instid0(VALU_DEP_4) | instskip(SKIP_2) | instid1(VALU_DEP_3)
	v_and_b32_e32 v26, 0xff, v1
	v_sub_nc_u16 v1, v64, v3
	v_and_b32_e32 v25, 0xff, v2
	v_mul_u32_u24_e32 v2, 6, v26
	s_delay_alu instid0(VALU_DEP_3) | instskip(NEXT) | instid1(VALU_DEP_3)
	v_and_b32_e32 v24, 0xffff, v1
	v_mul_u32_u24_e32 v1, 6, v25
	s_delay_alu instid0(VALU_DEP_3) | instskip(NEXT) | instid1(VALU_DEP_3)
	v_lshlrev_b32_e32 v2, 3, v2
	v_mul_u32_u24_e32 v3, 6, v24
	s_delay_alu instid0(VALU_DEP_3)
	v_lshlrev_b32_e32 v1, 3, v1
	s_clause 0x1
	global_load_b128 v[71:74], v2, s[4:5] offset:416
	global_load_b128 v[75:78], v1, s[4:5] offset:416
	v_lshlrev_b32_e32 v3, 3, v3
	s_clause 0x7
	global_load_b128 v[79:82], v3, s[4:5] offset:416
	global_load_b128 v[83:86], v0, s[4:5] offset:448
	;; [unrolled: 1-line block ×8, first 2 shown]
	ds_load_b64 v[67:68], v38
	ds_load_2addr_b64 v[34:37], v21 offset0:48 offset1:104
	ds_load_b64 v[14:15], v94
	ds_load_b64 v[12:13], v59
	;; [unrolled: 1-line block ×4, first 2 shown]
	ds_load_2addr_b64 v[109:112], v27 offset0:80 offset1:136
	ds_load_b64 v[16:17], v93
	ds_load_b64 v[157:158], v93 offset:15232
	ds_load_2addr_b64 v[113:116], v22 offset0:16 offset1:72
	ds_load_2addr_b64 v[117:120], v19 offset0:96 offset1:152
	;; [unrolled: 1-line block ×9, first 2 shown]
	ds_load_2addr_b64 v[149:152], v18 offset1:56
	ds_load_2addr_b64 v[153:156], v49 offset0:112 offset1:168
	s_waitcnt vmcnt(11) lgkmcnt(18)
	v_mul_f32_e32 v57, v42, v35
	v_mul_f32_e32 v47, v40, v68
	;; [unrolled: 1-line block ×6, first 2 shown]
	s_waitcnt lgkmcnt(13)
	v_dual_mul_f32 v160, v110, v40 :: v_dual_fmac_f32 v57, v41, v34
	v_mul_f32_e32 v34, v109, v40
	v_fma_f32 v91, v41, v35, -v91
	v_fmac_f32_e32 v159, v36, v41
	v_fma_f32 v41, v37, v41, -v42
	s_waitcnt vmcnt(10) lgkmcnt(9)
	v_mul_f32_e32 v42, v118, v46
	v_mul_f32_e32 v40, v116, v44
	;; [unrolled: 1-line block ×3, first 2 shown]
	v_fmac_f32_e32 v47, v39, v67
	v_fma_f32 v49, v39, v68, -v49
	v_mul_f32_e32 v36, v117, v46
	v_dual_mul_f32 v67, v120, v46 :: v_dual_fmac_f32 v42, v117, v45
	v_fmac_f32_e32 v160, v109, v39
	v_fma_f32 v39, v110, v39, -v34
	v_mul_f32_e32 v34, v119, v46
	s_waitcnt lgkmcnt(4)
	v_mul_f32_e32 v46, v138, v44
	v_mul_f32_e32 v44, v137, v44
	v_fmac_f32_e32 v40, v115, v43
	v_fma_f32 v68, v116, v43, -v35
	v_fma_f32 v109, v118, v45, -v36
	v_dual_fmac_f32 v67, v119, v45 :: v_dual_fmac_f32 v46, v137, v43
	v_fma_f32 v45, v120, v45, -v34
	ds_load_2addr_b64 v[34:37], v23 offset0:32 offset1:88
	v_fma_f32 v43, v138, v43, -v44
	v_add_f32_e32 v44, v40, v42
	v_add_f32_e32 v110, v68, v109
	v_sub_f32_e32 v40, v42, v40
	v_sub_f32_e32 v42, v109, v68
	v_dual_add_f32 v68, v46, v67 :: v_dual_add_f32 v109, v43, v45
	v_dual_sub_f32 v46, v67, v46 :: v_dual_sub_f32 v43, v45, v43
	s_waitcnt vmcnt(0) lgkmcnt(0)
	v_mul_f32_e32 v45, v112, v72
	v_dual_mul_f32 v67, v111, v72 :: v_dual_mul_f32 v72, v122, v74
	v_mul_f32_e32 v115, v124, v78
	s_delay_alu instid0(VALU_DEP_3) | instskip(NEXT) | instid1(VALU_DEP_3)
	v_dual_mul_f32 v74, v121, v74 :: v_dual_fmac_f32 v45, v111, v71
	v_fma_f32 v67, v112, v71, -v67
	v_mul_f32_e32 v71, v123, v78
	v_mul_f32_e32 v111, v126, v76
	;; [unrolled: 1-line block ×4, first 2 shown]
	v_fmac_f32_e32 v72, v121, v73
	v_fmac_f32_e32 v115, v123, v77
	v_fma_f32 v73, v122, v73, -v74
	v_dual_mul_f32 v74, v127, v80 :: v_dual_fmac_f32 v111, v125, v75
	v_dual_mul_f32 v116, v114, v82 :: v_dual_mul_f32 v121, v152, v108
	v_mul_f32_e32 v78, v113, v82
	v_mul_f32_e32 v80, v132, v84
	v_fma_f32 v117, v124, v77, -v71
	v_mul_f32_e32 v71, v131, v84
	v_mul_f32_e32 v77, v134, v86
	;; [unrolled: 1-line block ×3, first 2 shown]
	v_fma_f32 v119, v126, v75, -v76
	v_mul_f32_e32 v75, v136, v86
	v_mul_f32_e32 v82, v133, v86
	v_dual_mul_f32 v76, v135, v86 :: v_dual_fmac_f32 v77, v133, v85
	v_mul_f32_e32 v84, v141, v84
	v_dual_mul_f32 v86, v140, v88 :: v_dual_mul_f32 v123, v130, v7
	v_fmac_f32_e32 v112, v127, v79
	v_fma_f32 v120, v128, v79, -v74
	v_dual_mul_f32 v74, v139, v88 :: v_dual_mul_f32 v7, v129, v7
	v_mul_f32_e32 v79, v146, v90
	v_mul_f32_e32 v88, v145, v90
	v_dual_mul_f32 v90, v144, v98 :: v_dual_mul_f32 v125, v158, v3
	v_dual_fmac_f32 v116, v113, v81 :: v_dual_fmac_f32 v121, v151, v107
	v_fma_f32 v113, v114, v81, -v78
	v_dual_mul_f32 v78, v143, v98 :: v_dual_mul_f32 v3, v157, v3
	v_mul_f32_e32 v81, v150, v100
	v_fmac_f32_e32 v75, v135, v85
	v_fma_f32 v82, v134, v85, -v82
	v_fma_f32 v76, v136, v85, -v76
	v_dual_mul_f32 v85, v151, v108 :: v_dual_mul_f32 v122, v156, v5
	v_dual_fmac_f32 v123, v129, v6 :: v_dual_fmac_f32 v80, v131, v83
	v_fmac_f32_e32 v125, v157, v2
	v_fma_f32 v71, v132, v83, -v71
	v_mul_f32_e32 v98, v149, v100
	v_dual_mul_f32 v100, v148, v104 :: v_dual_fmac_f32 v79, v145, v89
	v_dual_mul_f32 v104, v147, v104 :: v_dual_fmac_f32 v81, v149, v99
	v_mul_f32_e32 v5, v155, v5
	v_fmac_f32_e32 v90, v143, v97
	v_fmac_f32_e32 v118, v141, v83
	v_fma_f32 v83, v142, v83, -v84
	v_mul_f32_e32 v108, v35, v106
	v_mul_f32_e32 v106, v34, v106
	;; [unrolled: 1-line block ×3, first 2 shown]
	v_dual_mul_f32 v1, v36, v1 :: v_dual_fmac_f32 v86, v139, v87
	v_fma_f32 v74, v140, v87, -v74
	v_fma_f32 v84, v146, v89, -v88
	;; [unrolled: 1-line block ×3, first 2 shown]
	v_fmac_f32_e32 v100, v147, v103
	v_fma_f32 v88, v148, v103, -v104
	v_fmac_f32_e32 v108, v34, v105
	v_fma_f32 v97, v35, v105, -v106
	;; [unrolled: 2-line block ×3, first 2 shown]
	v_fma_f32 v105, v37, v0, -v1
	v_add_f32_e32 v1, v49, v82
	v_add_f32_e32 v5, v91, v71
	v_fma_f32 v87, v150, v99, -v98
	v_fmac_f32_e32 v124, v36, v0
	v_add_f32_e32 v0, v47, v77
	v_add_f32_e32 v4, v57, v80
	v_mul_f32_e32 v114, v154, v102
	v_dual_mul_f32 v102, v153, v102 :: v_dual_add_f32 v35, v39, v76
	v_fma_f32 v104, v130, v6, -v7
	v_fma_f32 v106, v158, v2, -v3
	v_dual_sub_f32 v2, v47, v77 :: v_dual_add_f32 v77, v86, v79
	v_sub_f32_e32 v3, v49, v82
	v_dual_sub_f32 v6, v57, v80 :: v_dual_sub_f32 v79, v79, v86
	v_sub_f32_e32 v7, v91, v71
	v_add_f32_e32 v34, v160, v75
	v_dual_sub_f32 v36, v160, v75 :: v_dual_sub_f32 v37, v39, v76
	v_add_f32_e32 v47, v41, v83
	v_add_f32_e32 v57, v45, v81
	;; [unrolled: 1-line block ×3, first 2 shown]
	v_sub_f32_e32 v45, v45, v81
	v_sub_f32_e32 v67, v67, v87
	v_add_f32_e32 v75, v72, v90
	v_add_f32_e32 v39, v159, v118
	;; [unrolled: 1-line block ×3, first 2 shown]
	v_sub_f32_e32 v73, v73, v78
	v_dual_add_f32 v81, v5, v1 :: v_dual_add_f32 v80, v4, v0
	s_delay_alu instid0(VALU_DEP_4)
	v_dual_add_f32 v91, v39, v34 :: v_dual_fmac_f32 v114, v153, v101
	v_sub_f32_e32 v49, v159, v118
	v_fma_f32 v89, v154, v101, -v102
	v_dual_sub_f32 v41, v41, v83 :: v_dual_sub_f32 v72, v72, v90
	v_add_f32_e32 v78, v74, v84
	v_dual_sub_f32 v74, v84, v74 :: v_dual_sub_f32 v101, v47, v35
	v_dual_sub_f32 v82, v4, v0 :: v_dual_sub_f32 v99, v39, v34
	v_dual_sub_f32 v83, v5, v1 :: v_dual_sub_f32 v0, v0, v44
	v_dual_sub_f32 v1, v1, v110 :: v_dual_sub_f32 v4, v44, v4
	v_dual_sub_f32 v5, v110, v5 :: v_dual_add_f32 v84, v40, v6
	v_dual_add_f32 v86, v42, v7 :: v_dual_sub_f32 v87, v40, v6
	v_sub_f32_e32 v90, v42, v7
	v_add_f32_e32 v98, v47, v35
	v_dual_sub_f32 v34, v34, v68 :: v_dual_add_f32 v127, v75, v57
	v_dual_sub_f32 v35, v35, v109 :: v_dual_add_f32 v44, v44, v80
	v_fma_f32 v85, v152, v107, -v85
	v_dual_sub_f32 v40, v2, v40 :: v_dual_sub_f32 v39, v68, v39
	v_dual_sub_f32 v6, v6, v2 :: v_dual_sub_f32 v7, v7, v3
	v_dual_sub_f32 v47, v109, v47 :: v_dual_add_f32 v102, v46, v49
	v_add_f32_e32 v107, v43, v41
	v_sub_f32_e32 v118, v46, v49
	v_sub_f32_e32 v126, v43, v41
	v_dual_sub_f32 v46, v36, v46 :: v_dual_sub_f32 v129, v75, v57
	v_sub_f32_e32 v49, v49, v36
	v_dual_sub_f32 v41, v41, v37 :: v_dual_add_f32 v128, v76, v71
	v_dual_add_f32 v131, v79, v72 :: v_dual_sub_f32 v130, v76, v71
	v_sub_f32_e32 v133, v79, v72
	v_sub_f32_e32 v57, v57, v77
	v_dual_sub_f32 v75, v77, v75 :: v_dual_sub_f32 v76, v78, v76
	v_sub_f32_e32 v135, v72, v45
	v_add_f32_e32 v132, v74, v73
	v_dual_sub_f32 v134, v74, v73 :: v_dual_mul_f32 v87, 0x3f08b237, v87
	v_sub_f32_e32 v74, v67, v74
	v_add_f32_e32 v72, v110, v81
	v_dual_add_f32 v80, v84, v2 :: v_dual_add_f32 v81, v86, v3
	v_mul_f32_e32 v84, 0x3f4a47b2, v0
	v_dual_add_f32 v68, v68, v91 :: v_dual_mul_f32 v137, 0xbf5ff5aa, v49
	v_dual_add_f32 v86, v109, v98 :: v_dual_mul_f32 v35, 0x3f4a47b2, v35
	v_mul_f32_e32 v91, 0x3f4a47b2, v1
	v_dual_mul_f32 v98, 0x3d64c772, v4 :: v_dual_add_f32 v77, v77, v127
	v_mul_f32_e32 v109, 0x3d64c772, v5
	v_dual_mul_f32 v90, 0x3f08b237, v90 :: v_dual_add_f32 v127, v131, v45
	v_add_f32_e32 v0, v16, v44
	v_dual_sub_f32 v42, v3, v42 :: v_dual_sub_f32 v43, v37, v43
	v_sub_f32_e32 v71, v71, v78
	v_sub_f32_e32 v79, v45, v79
	v_dual_sub_f32 v73, v73, v67 :: v_dual_add_f32 v36, v102, v36
	v_mul_f32_e32 v45, 0x3f4a47b2, v57
	v_dual_mul_f32 v102, 0xbf5ff5aa, v6 :: v_dual_add_f32 v37, v107, v37
	v_mul_f32_e32 v107, 0xbf5ff5aa, v7
	v_dual_mul_f32 v34, 0x3f4a47b2, v34 :: v_dual_mul_f32 v57, 0x3f4a47b2, v71
	v_dual_mul_f32 v110, 0x3d64c772, v39 :: v_dual_mul_f32 v71, 0x3d64c772, v76
	v_dual_mul_f32 v136, 0x3d64c772, v47 :: v_dual_add_f32 v1, v17, v72
	v_dual_mul_f32 v118, 0x3f08b237, v118 :: v_dual_mul_f32 v131, 0x3f08b237, v133
	v_dual_mul_f32 v138, 0xbf5ff5aa, v41 :: v_dual_add_f32 v3, v15, v86
	v_add_f32_e32 v78, v78, v128
	v_dual_add_f32 v128, v132, v67 :: v_dual_fmamk_f32 v17, v5, 0x3d64c772, v91
	v_dual_mul_f32 v67, 0x3d64c772, v75 :: v_dual_add_f32 v2, v14, v68
	s_delay_alu instid0(VALU_DEP_3)
	v_dual_fmamk_f32 v14, v4, 0x3d64c772, v84 :: v_dual_add_f32 v5, v13, v78
	v_fma_f32 v15, 0x3f3bfb3b, v82, -v98
	v_fma_f32 v16, 0xbf3bfb3b, v82, -v84
	;; [unrolled: 1-line block ×5, first 2 shown]
	v_dual_fmamk_f32 v7, v47, 0x3d64c772, v35 :: v_dual_add_f32 v4, v12, v77
	v_fmamk_f32 v75, v75, 0x3d64c772, v45
	v_fmamk_f32 v12, v44, 0xbf955555, v0
	v_mul_f32_e32 v126, 0x3f08b237, v126
	v_mul_f32_e32 v133, 0xbf5ff5aa, v135
	v_fma_f32 v84, 0xbf5ff5aa, v6, -v87
	v_fmamk_f32 v87, v40, 0xbeae86e6, v87
	v_fma_f32 v40, 0x3eae86e6, v40, -v102
	v_fma_f32 v47, 0x3f3bfb3b, v101, -v136
	;; [unrolled: 1-line block ×3, first 2 shown]
	v_fmamk_f32 v101, v43, 0xbeae86e6, v126
	v_fma_f32 v102, 0x3eae86e6, v43, -v138
	v_fmamk_f32 v13, v72, 0xbf955555, v1
	v_fmamk_f32 v6, v39, 0x3d64c772, v34
	v_fma_f32 v39, 0x3f3bfb3b, v99, -v110
	v_fma_f32 v34, 0xbf3bfb3b, v99, -v34
	;; [unrolled: 1-line block ×3, first 2 shown]
	v_fmamk_f32 v43, v86, 0xbf955555, v3
	v_fmamk_f32 v98, v46, 0xbeae86e6, v118
	v_fma_f32 v46, 0xbf5ff5aa, v41, -v126
	v_dual_fmamk_f32 v41, v68, 0xbf955555, v2 :: v_dual_fmamk_f32 v78, v78, 0xbf955555, v5
	v_fma_f32 v49, 0xbf5ff5aa, v49, -v118
	v_fma_f32 v110, 0xbf3bfb3b, v129, -v45
	v_dual_fmac_f32 v84, 0xbee1c552, v80 :: v_dual_fmac_f32 v91, 0xbee1c552, v81
	s_delay_alu instid0(VALU_DEP_4) | instskip(SKIP_4) | instid1(VALU_DEP_3)
	v_add_f32_e32 v68, v39, v41
	v_fmamk_f32 v90, v42, 0xbeae86e6, v90
	v_fma_f32 v42, 0x3eae86e6, v42, -v107
	v_dual_mul_f32 v132, 0x3f08b237, v134 :: v_dual_add_f32 v45, v17, v13
	v_fma_f32 v107, 0x3f3bfb3b, v129, -v67
	v_dual_fmac_f32 v49, 0xbee1c552, v36 :: v_dual_fmac_f32 v42, 0xbee1c552, v81
	v_dual_fmac_f32 v99, 0xbee1c552, v36 :: v_dual_fmac_f32 v46, 0xbee1c552, v37
	v_add_f32_e32 v17, v82, v13
	v_add_f32_e32 v67, v83, v13
	v_dual_fmac_f32 v87, 0xbee1c552, v80 :: v_dual_fmac_f32 v90, 0xbee1c552, v81
	v_dual_add_f32 v81, v35, v43 :: v_dual_fmac_f32 v98, 0xbee1c552, v36
	v_add_f32_e32 v36, v14, v12
	v_dual_fmac_f32 v40, 0xbee1c552, v80 :: v_dual_fmac_f32 v101, 0xbee1c552, v37
	v_dual_mul_f32 v134, 0xbf5ff5aa, v73 :: v_dual_add_f32 v47, v47, v43
	s_delay_alu instid0(VALU_DEP_2)
	v_dual_fmac_f32 v102, 0xbee1c552, v37 :: v_dual_sub_f32 v13, v67, v40
	v_dual_fmamk_f32 v77, v77, 0xbf955555, v4 :: v_dual_add_f32 v44, v16, v12
	v_dual_add_f32 v37, v15, v12 :: v_dual_add_f32 v72, v34, v41
	v_add_f32_e32 v15, v84, v17
	v_dual_sub_f32 v17, v17, v84 :: v_dual_add_f32 v80, v7, v43
	v_fmamk_f32 v76, v76, 0x3d64c772, v57
	v_fma_f32 v109, 0x3f3bfb3b, v130, -v71
	v_add_f32_e32 v71, v6, v41
	v_fma_f32 v57, 0xbf3bfb3b, v130, -v57
	v_dual_fmamk_f32 v118, v79, 0xbeae86e6, v131 :: v_dual_sub_f32 v7, v45, v87
	v_dual_add_f32 v6, v90, v36 :: v_dual_add_f32 v35, v40, v67
	v_add_f32_e32 v12, v42, v44
	v_dual_sub_f32 v14, v37, v91 :: v_dual_sub_f32 v43, v68, v46
	v_dual_add_f32 v16, v91, v37 :: v_dual_add_f32 v39, v101, v71
	v_dual_sub_f32 v34, v44, v42 :: v_dual_add_f32 v37, v87, v45
	v_add_f32_e32 v45, v46, v68
	v_dual_add_f32 v41, v102, v72 :: v_dual_sub_f32 v40, v80, v98
	v_dual_add_f32 v44, v49, v47 :: v_dual_add_f32 v83, v75, v77
	v_dual_sub_f32 v46, v47, v49 :: v_dual_add_f32 v57, v57, v78
	v_dual_fmamk_f32 v47, v74, 0xbeae86e6, v132 :: v_dual_sub_f32 v42, v81, v99
	v_dual_sub_f32 v67, v72, v102 :: v_dual_add_f32 v68, v99, v81
	v_add_f32_e32 v72, v98, v80
	v_fma_f32 v49, 0xbf5ff5aa, v135, -v131
	v_fma_f32 v80, 0xbf5ff5aa, v73, -v132
	;; [unrolled: 1-line block ×3, first 2 shown]
	v_add_f32_e32 v79, v107, v77
	v_fma_f32 v81, 0x3eae86e6, v74, -v134
	v_dual_fmac_f32 v47, 0xbee1c552, v128 :: v_dual_add_f32 v84, v76, v78
	v_dual_add_f32 v87, v110, v77 :: v_dual_add_f32 v86, v109, v78
	v_fmac_f32_e32 v49, 0xbee1c552, v127
	s_delay_alu instid0(VALU_DEP_4) | instskip(NEXT) | instid1(VALU_DEP_4)
	v_dual_fmac_f32 v118, 0xbee1c552, v127 :: v_dual_fmac_f32 v81, 0xbee1c552, v128
	v_dual_fmac_f32 v80, 0xbee1c552, v128 :: v_dual_add_f32 v73, v47, v83
	v_fmac_f32_e32 v82, 0xbee1c552, v127
	v_dual_sub_f32 v36, v36, v90 :: v_dual_sub_f32 v71, v71, v101
	s_delay_alu instid0(VALU_DEP_4) | instskip(NEXT) | instid1(VALU_DEP_3)
	v_dual_sub_f32 v74, v84, v118 :: v_dual_add_f32 v75, v81, v87
	v_dual_sub_f32 v77, v79, v80 :: v_dual_sub_f32 v76, v57, v82
	v_dual_add_f32 v79, v80, v79 :: v_dual_add_f32 v78, v49, v86
	v_sub_f32_e32 v81, v87, v81
	v_dual_sub_f32 v80, v86, v49 :: v_dual_sub_f32 v83, v83, v47
	v_dual_add_f32 v84, v118, v84 :: v_dual_add_f32 v47, v111, v121
	v_dual_add_f32 v49, v119, v85 :: v_dual_add_f32 v98, v89, v88
	;; [unrolled: 1-line block ×3, first 2 shown]
	v_dual_sub_f32 v90, v115, v108 :: v_dual_sub_f32 v91, v117, v97
	v_dual_add_f32 v97, v114, v100 :: v_dual_sub_f32 v88, v88, v89
	v_dual_add_f32 v82, v82, v57 :: v_dual_sub_f32 v99, v100, v114
	v_sub_f32_e32 v85, v119, v85
	v_dual_add_f32 v89, v86, v47 :: v_dual_add_f32 v100, v87, v49
	v_dual_sub_f32 v101, v86, v47 :: v_dual_sub_f32 v102, v87, v49
	v_dual_sub_f32 v47, v47, v97 :: v_dual_sub_f32 v110, v88, v91
	v_dual_sub_f32 v57, v111, v121 :: v_dual_sub_f32 v86, v97, v86
	v_sub_f32_e32 v87, v98, v87
	v_add_f32_e32 v108, v88, v91
	v_sub_f32_e32 v88, v85, v88
	v_add_f32_e32 v89, v97, v89
	v_mul_f32_e32 v47, 0x3f4a47b2, v47
	v_sub_f32_e32 v91, v91, v85
	v_add_f32_e32 v97, v98, v100
	v_sub_f32_e32 v49, v49, v98
	v_dual_sub_f32 v109, v99, v90 :: v_dual_mul_f32 v100, 0x3d64c772, v87
	v_dual_add_f32 v85, v108, v85 :: v_dual_mul_f32 v98, 0x3d64c772, v86
	v_mul_f32_e32 v108, 0x3f08b237, v110
	v_dual_add_f32 v107, v99, v90 :: v_dual_add_f32 v10, v10, v89
	v_dual_sub_f32 v99, v57, v99 :: v_dual_fmamk_f32 v86, v86, 0x3d64c772, v47
	v_dual_mul_f32 v110, 0xbf5ff5aa, v91 :: v_dual_add_f32 v11, v11, v97
	v_sub_f32_e32 v90, v90, v57
	v_fma_f32 v100, 0x3f3bfb3b, v102, -v100
	v_add_f32_e32 v57, v107, v57
	v_mul_f32_e32 v107, 0x3f08b237, v109
	v_fmamk_f32 v97, v97, 0xbf955555, v11
	v_fmamk_f32 v89, v89, 0xbf955555, v10
	v_fma_f32 v98, 0x3f3bfb3b, v101, -v98
	v_fma_f32 v47, 0xbf3bfb3b, v101, -v47
	v_fmamk_f32 v101, v88, 0xbeae86e6, v108
	v_add_f32_e32 v100, v100, v97
	v_mul_f32_e32 v49, 0x3f4a47b2, v49
	v_dual_mul_f32 v109, 0xbf5ff5aa, v90 :: v_dual_add_f32 v98, v98, v89
	v_fma_f32 v91, 0xbf5ff5aa, v91, -v108
	v_add_f32_e32 v47, v47, v89
	s_delay_alu instid0(VALU_DEP_4)
	v_fmamk_f32 v87, v87, 0x3d64c772, v49
	v_fma_f32 v49, 0xbf3bfb3b, v102, -v49
	v_fmamk_f32 v102, v99, 0xbeae86e6, v107
	v_fma_f32 v108, 0x3eae86e6, v99, -v109
	v_fma_f32 v99, 0x3eae86e6, v88, -v110
	v_add_f32_e32 v110, v87, v97
	v_add_f32_e32 v109, v86, v89
	;; [unrolled: 1-line block ×3, first 2 shown]
	v_fmac_f32_e32 v91, 0xbee1c552, v85
	v_fmac_f32_e32 v99, 0xbee1c552, v85
	v_dual_fmac_f32 v102, 0xbee1c552, v57 :: v_dual_sub_f32 v111, v123, v122
	s_barrier
	s_delay_alu instid0(VALU_DEP_3)
	v_sub_f32_e32 v89, v98, v91
	buffer_gl0_inv
	v_sub_f32_e32 v86, v110, v102
	v_add_f32_e32 v102, v102, v110
	v_fma_f32 v107, 0xbf5ff5aa, v90, -v107
	v_fmac_f32_e32 v108, 0xbee1c552, v57
	v_add_f32_e32 v110, v103, v104
	ds_store_2addr_b64 v93, v[0:1], v[6:7] offset1:56
	v_add_nc_u32_e32 v6, 0xc00, v93
	v_dual_fmac_f32 v107, 0xbee1c552, v57 :: v_dual_sub_f32 v88, v49, v108
	v_sub_f32_e32 v57, v112, v125
	v_add_f32_e32 v97, v91, v98
	v_lshl_add_u32 v0, v26, 3, 0
	s_delay_alu instid0(VALU_DEP_4)
	v_add_f32_e32 v90, v107, v100
	v_sub_f32_e32 v98, v100, v107
	v_add_f32_e32 v100, v108, v49
	v_dual_sub_f32 v108, v116, v124 :: v_dual_add_f32 v107, v113, v105
	v_sub_f32_e32 v105, v113, v105
	v_sub_f32_e32 v103, v104, v103
	v_add_f32_e32 v49, v120, v106
	s_delay_alu instid0(VALU_DEP_4)
	v_add_f32_e32 v115, v111, v108
	v_sub_f32_e32 v117, v111, v108
	v_add_f32_e32 v87, v99, v47
	v_sub_f32_e32 v91, v120, v106
	v_dual_add_f32 v106, v116, v124 :: v_dual_fmac_f32 v101, 0xbee1c552, v85
	v_add_f32_e32 v116, v103, v105
	v_sub_f32_e32 v114, v107, v49
	v_dual_sub_f32 v118, v103, v105 :: v_dual_sub_f32 v111, v57, v111
	v_dual_sub_f32 v99, v47, v99 :: v_dual_sub_f32 v108, v108, v57
	v_add_f32_e32 v57, v115, v57
	v_mul_f32_e32 v115, 0x3f08b237, v117
	v_add_f32_e32 v47, v112, v125
	v_add_f32_e32 v85, v101, v109
	v_dual_add_f32 v112, v107, v49 :: v_dual_sub_f32 v107, v110, v107
	v_sub_f32_e32 v101, v109, v101
	v_add_f32_e32 v109, v122, v123
	v_add_f32_e32 v104, v106, v47
	v_sub_f32_e32 v113, v106, v47
	v_mul_f32_e32 v117, 0xbf5ff5aa, v108
	v_add_nc_u32_e32 v1, 0x1800, v0
	v_dual_sub_f32 v47, v47, v109 :: v_dual_sub_f32 v106, v109, v106
	v_add_f32_e32 v104, v109, v104
	v_dual_add_f32 v109, v110, v112 :: v_dual_mul_f32 v112, 0x3d64c772, v107
	v_fma_f32 v117, 0x3eae86e6, v111, -v117
	s_delay_alu instid0(VALU_DEP_3) | instskip(NEXT) | instid1(VALU_DEP_3)
	v_dual_mul_f32 v47, 0x3f4a47b2, v47 :: v_dual_add_f32 v8, v8, v104
	v_add_f32_e32 v9, v9, v109
	s_delay_alu instid0(VALU_DEP_4) | instskip(NEXT) | instid1(VALU_DEP_4)
	v_fma_f32 v112, 0x3f3bfb3b, v114, -v112
	v_fmac_f32_e32 v117, 0xbee1c552, v57
	v_lshl_add_u32 v7, v24, 3, 0
	s_delay_alu instid0(VALU_DEP_4) | instskip(NEXT) | instid1(VALU_DEP_1)
	v_dual_fmamk_f32 v104, v104, 0xbf955555, v8 :: v_dual_fmamk_f32 v109, v109, 0xbf955555, v9
	v_dual_add_f32 v112, v112, v109 :: v_dual_sub_f32 v49, v49, v110
	v_mul_f32_e32 v110, 0x3d64c772, v106
	v_fmamk_f32 v106, v106, 0x3d64c772, v47
	s_delay_alu instid0(VALU_DEP_3) | instskip(NEXT) | instid1(VALU_DEP_1)
	v_mul_f32_e32 v49, 0x3f4a47b2, v49
	v_fmamk_f32 v107, v107, 0x3d64c772, v49
	v_fma_f32 v49, 0xbf3bfb3b, v114, -v49
	v_fmamk_f32 v114, v111, 0xbeae86e6, v115
	v_fma_f32 v115, 0xbf5ff5aa, v108, -v115
	s_delay_alu instid0(VALU_DEP_4) | instskip(NEXT) | instid1(VALU_DEP_4)
	v_add_f32_e32 v119, v107, v109
	v_add_f32_e32 v49, v49, v109
	s_delay_alu instid0(VALU_DEP_4) | instskip(SKIP_3) | instid1(VALU_DEP_3)
	v_fmac_f32_e32 v114, 0xbee1c552, v57
	v_fma_f32 v110, 0x3f3bfb3b, v113, -v110
	v_sub_f32_e32 v103, v91, v103
	v_fma_f32 v47, 0xbf3bfb3b, v113, -v47
	v_dual_fmac_f32 v115, 0xbee1c552, v57 :: v_dual_add_f32 v110, v110, v104
	v_sub_f32_e32 v105, v105, v91
	v_dual_add_f32 v91, v116, v91 :: v_dual_mul_f32 v116, 0x3f08b237, v118
	s_delay_alu instid0(VALU_DEP_3) | instskip(NEXT) | instid1(VALU_DEP_3)
	v_add_f32_e32 v108, v115, v112
	v_dual_add_f32 v47, v47, v104 :: v_dual_mul_f32 v118, 0xbf5ff5aa, v105
	s_delay_alu instid0(VALU_DEP_3) | instskip(SKIP_1) | instid1(VALU_DEP_1)
	v_fmamk_f32 v113, v103, 0xbeae86e6, v116
	v_fma_f32 v116, 0xbf5ff5aa, v105, -v116
	v_fmac_f32_e32 v116, 0xbee1c552, v91
	s_delay_alu instid0(VALU_DEP_1)
	v_sub_f32_e32 v107, v110, v116
	v_add_f32_e32 v109, v116, v110
	v_sub_f32_e32 v110, v112, v115
	v_add_f32_e32 v112, v117, v49
	v_fma_f32 v111, 0x3eae86e6, v103, -v118
	v_add_f32_e32 v118, v106, v104
	v_sub_f32_e32 v104, v119, v114
	v_sub_f32_e32 v106, v49, v117
	v_add_f32_e32 v114, v114, v119
	v_fmac_f32_e32 v111, 0xbee1c552, v91
	s_delay_alu instid0(VALU_DEP_1)
	v_add_f32_e32 v105, v111, v47
	v_sub_f32_e32 v111, v47, v111
	v_add_nc_u32_e32 v47, 0x400, v93
	ds_store_2addr_b64 v93, v[12:13], v[14:15] offset0:112 offset1:168
	ds_store_2addr_b64 v47, v[16:17], v[34:35] offset0:96 offset1:152
	;; [unrolled: 1-line block ×3, first 2 shown]
	v_lshl_add_u32 v2, v25, 3, 0
	v_dual_mov_b32 v34, v70 :: v_dual_fmac_f32 v113, 0xbee1c552, v91
	v_add_nc_u32_e32 v3, 0x1c00, v0
	ds_store_b64 v92, v[39:40]
	ds_store_2addr_b64 v6, v[41:42], v[43:44] offset0:120 offset1:176
	ds_store_2addr_b64 v21, v[45:46], v[67:68] offset0:104 offset1:160
	ds_store_2addr_b64 v1, v[4:5], v[73:74] offset0:16 offset1:72
	v_add_nc_u32_e32 v4, 0x2000, v2
	v_add_f32_e32 v103, v113, v118
	v_add_nc_u32_e32 v5, 0x2800, v2
	ds_store_2addr_b64 v1, v[75:76], v[77:78] offset0:128 offset1:184
	v_add_nc_u32_e32 v1, 0x3000, v7
	ds_store_2addr_b64 v3, v[79:80], v[81:82] offset0:112 offset1:168
	ds_store_2addr_b64 v4, v[10:11], v[85:86] offset0:152 offset1:208
	;; [unrolled: 1-line block ×4, first 2 shown]
	v_add_nc_u32_e32 v3, 0x3800, v7
	ds_store_b64 v0, v[83:84] offset:8960
	ds_store_b64 v2, v[101:102] offset:12096
	ds_store_2addr_b64 v1, v[8:9], v[103:104] offset0:32 offset1:88
	ds_store_2addr_b64 v1, v[105:106], v[107:108] offset0:144 offset1:200
	v_lshlrev_b64 v[0:1], 3, v[33:34]
	v_mov_b32_e32 v33, v70
	v_sub_f32_e32 v113, v118, v113
	ds_store_2addr_b64 v3, v[109:110], v[111:112] offset1:56
	ds_store_b64 v93, v[71:72] offset:5824
	ds_store_b64 v7, v[113:114] offset:15232
	v_lshlrev_b64 v[2:3], 3, v[32:33]
	v_add_co_u32 v0, s1, s4, v0
	s_delay_alu instid0(VALU_DEP_1) | instskip(SKIP_1) | instid1(VALU_DEP_4)
	v_add_co_ci_u32_e64 v1, s1, s5, v1, s1
	v_mov_b32_e32 v32, v70
	v_add_co_u32 v2, s1, s4, v2
	s_delay_alu instid0(VALU_DEP_1)
	v_add_co_ci_u32_e64 v3, s1, s5, v3, s1
	s_waitcnt lgkmcnt(0)
	s_barrier
	buffer_gl0_inv
	s_clause 0x3
	global_load_b128 v[12:15], v[0:1], off offset:3104
	global_load_b128 v[24:27], v[0:1], off offset:3120
	global_load_b128 v[33:36], v[2:3], off offset:3104
	global_load_b128 v[39:42], v[2:3], off offset:3120
	v_lshlrev_b64 v[0:1], 3, v[31:32]
	v_mov_b32_e32 v31, v70
	s_delay_alu instid0(VALU_DEP_2) | instskip(NEXT) | instid1(VALU_DEP_2)
	v_add_co_u32 v0, s1, s4, v0
	v_lshlrev_b64 v[2:3], 3, v[30:31]
	s_delay_alu instid0(VALU_DEP_4)
	v_add_co_ci_u32_e64 v1, s1, s5, v1, s1
	v_mov_b32_e32 v30, v70
	s_clause 0x1
	global_load_b128 v[43:46], v[0:1], off offset:3104
	global_load_b128 v[71:74], v[0:1], off offset:3120
	v_add_co_u32 v0, s1, s4, v2
	s_delay_alu instid0(VALU_DEP_1)
	v_add_co_ci_u32_e64 v1, s1, s5, v3, s1
	v_lshlrev_b64 v[2:3], 3, v[29:30]
	v_mov_b32_e32 v29, v70
	s_clause 0x1
	global_load_b128 v[75:78], v[0:1], off offset:3104
	global_load_b128 v[79:82], v[0:1], off offset:3120
	v_add_co_u32 v0, s1, s4, v2
	s_delay_alu instid0(VALU_DEP_1)
	v_add_co_ci_u32_e64 v1, s1, s5, v3, s1
	v_lshlrev_b64 v[2:3], 3, v[28:29]
	s_clause 0x1
	global_load_b128 v[28:31], v[0:1], off offset:3104
	global_load_b128 v[83:86], v[0:1], off offset:3120
	v_add_co_u32 v0, s1, s4, v2
	s_delay_alu instid0(VALU_DEP_1)
	v_add_co_ci_u32_e64 v1, s1, s5, v3, s1
	v_lshlrev_b64 v[2:3], 3, v[69:70]
	s_clause 0x1
	global_load_b128 v[87:90], v[0:1], off offset:3104
	global_load_b128 v[97:100], v[0:1], off offset:3120
	v_add_co_u32 v0, s1, s4, v2
	s_delay_alu instid0(VALU_DEP_1)
	v_add_co_ci_u32_e64 v1, s1, s5, v3, s1
	s_clause 0x1
	global_load_b128 v[101:104], v[0:1], off offset:3104
	global_load_b128 v[105:108], v[0:1], off offset:3120
	v_add_nc_u32_e32 v0, 0x1400, v93
	ds_load_b64 v[16:17], v95
	v_add_nc_u32_e32 v1, 0x2c00, v93
	v_add_nc_u32_e32 v2, 0x3400, v93
	ds_load_2addr_b64 v[109:112], v0 offset0:88 offset1:144
	ds_load_2addr_b64 v[67:70], v19 offset0:152 offset1:208
	ds_load_2addr_stride64_b64 v[113:116], v93 offset1:7
	ds_load_2addr_b64 v[117:120], v1 offset0:104 offset1:160
	ds_load_2addr_b64 v[121:124], v22 offset0:72 offset1:128
	;; [unrolled: 1-line block ×7, first 2 shown]
	ds_load_b64 v[10:11], v94
	ds_load_b64 v[8:9], v59
	;; [unrolled: 1-line block ×4, first 2 shown]
	ds_load_2addr_b64 v[145:148], v21 offset0:104 offset1:160
	ds_load_b64 v[2:3], v38
	ds_load_b64 v[0:1], v96
	ds_load_2addr_b64 v[20:23], v20 offset0:120 offset1:176
	s_mov_b32 s4, exec_lo
	s_waitcnt vmcnt(12) lgkmcnt(16)
	v_mul_f32_e32 v91, v68, v25
	s_waitcnt vmcnt(11) lgkmcnt(15)
	v_mul_f32_e32 v150, v116, v34
	s_waitcnt lgkmcnt(13)
	v_dual_mul_f32 v34, v115, v34 :: v_dual_mul_f32 v151, v122, v36
	v_mul_f32_e32 v36, v121, v36
	s_waitcnt vmcnt(10)
	v_mul_f32_e32 v152, v70, v40
	v_mul_f32_e32 v40, v69, v40
	v_dual_mul_f32 v32, v13, v17 :: v_dual_mul_f32 v37, v15, v112
	v_mul_f32_e32 v15, v15, v111
	v_fmac_f32_e32 v150, v115, v33
	v_fma_f32 v33, v116, v33, -v34
	v_fmac_f32_e32 v151, v121, v35
	v_fma_f32 v34, v122, v35, -v36
	v_fma_f32 v35, v70, v39, -v40
	v_dual_fmac_f32 v32, v12, v16 :: v_dual_fmac_f32 v37, v14, v111
	v_mul_f32_e32 v149, v120, v27
	v_fmac_f32_e32 v91, v67, v24
	s_waitcnt vmcnt(8) lgkmcnt(11)
	v_dual_mul_f32 v115, v130, v44 :: v_dual_mul_f32 v122, v128, v74
	v_fmac_f32_e32 v152, v69, v39
	s_delay_alu instid0(VALU_DEP_2)
	v_fmac_f32_e32 v122, v127, v73
	s_waitcnt vmcnt(6) lgkmcnt(8)
	v_mul_f32_e32 v40, v141, v82
	s_waitcnt vmcnt(3) lgkmcnt(3)
	v_mul_f32_e32 v70, v148, v88
	v_mul_f32_e32 v13, v13, v16
	;; [unrolled: 1-line block ×3, first 2 shown]
	v_fma_f32 v111, v14, v112, -v15
	v_mul_f32_e32 v112, v124, v46
	v_fmac_f32_e32 v70, v147, v87
	v_fma_f32 v153, v12, v17, -v13
	v_mul_f32_e32 v17, v123, v46
	ds_load_2addr_b64 v[12:15], v19 offset0:40 offset1:96
	v_fma_f32 v36, v126, v41, -v16
	v_fmac_f32_e32 v112, v123, v45
	v_fma_f32 v116, v124, v45, -v17
	ds_load_2addr_b64 v[16:19], v18 offset0:56 offset1:112
	v_dual_mul_f32 v25, v67, v25 :: v_dual_mul_f32 v124, v138, v78
	s_waitcnt vmcnt(0) lgkmcnt(0)
	s_barrier
	buffer_gl0_inv
	v_fma_f32 v24, v68, v24, -v25
	v_mul_f32_e32 v68, v23, v98
	v_mul_f32_e32 v27, v119, v27
	v_dual_fmac_f32 v149, v119, v26 :: v_dual_fmac_f32 v124, v137, v77
	s_delay_alu instid0(VALU_DEP_3) | instskip(NEXT) | instid1(VALU_DEP_3)
	v_fmac_f32_e32 v68, v22, v97
	v_fma_f32 v25, v120, v26, -v27
	v_mul_f32_e32 v26, v129, v44
	v_mul_f32_e32 v44, v118, v106
	;; [unrolled: 1-line block ×3, first 2 shown]
	s_delay_alu instid0(VALU_DEP_3)
	v_fma_f32 v120, v130, v43, -v26
	v_mul_f32_e32 v26, v127, v74
	v_dual_mul_f32 v46, v19, v108 :: v_dual_mul_f32 v27, v126, v42
	v_fmac_f32_e32 v44, v117, v105
	v_fmac_f32_e32 v115, v129, v43
	v_dual_fmac_f32 v67, v12, v89 :: v_dual_mul_f32 v42, v110, v102
	s_delay_alu instid0(VALU_DEP_4)
	v_dual_fmac_f32 v27, v125, v41 :: v_dual_fmac_f32 v46, v18, v107
	v_fma_f32 v125, v128, v73, -v26
	v_mul_f32_e32 v26, v137, v78
	v_dual_mul_f32 v39, v133, v72 :: v_dual_mul_f32 v78, v146, v29
	v_mul_f32_e32 v41, v15, v104
	v_mul_f32_e32 v18, v18, v108
	s_delay_alu instid0(VALU_DEP_4) | instskip(SKIP_4) | instid1(VALU_DEP_4)
	v_fma_f32 v129, v138, v77, -v26
	v_mul_f32_e32 v77, v21, v84
	v_mul_f32_e32 v26, v145, v29
	v_fma_f32 v121, v134, v71, -v39
	v_dual_fmac_f32 v78, v145, v28 :: v_dual_fmac_f32 v41, v14, v103
	v_fmac_f32_e32 v77, v20, v83
	v_mul_f32_e32 v20, v20, v84
	v_fma_f32 v45, v19, v107, -v18
	v_mul_f32_e32 v128, v142, v82
	v_add_f32_e32 v82, v116, v121
	v_sub_f32_e32 v84, v125, v121
	v_fma_f32 v74, v21, v83, -v20
	v_mul_f32_e32 v20, v12, v90
	v_dual_mul_f32 v12, v16, v100 :: v_dual_mul_f32 v21, v22, v98
	v_fmac_f32_e32 v128, v141, v81
	v_fmac_f32_e32 v42, v109, v101
	s_delay_alu instid0(VALU_DEP_4) | instskip(NEXT) | instid1(VALU_DEP_4)
	v_fma_f32 v49, v13, v89, -v20
	v_fma_f32 v69, v17, v99, -v12
	v_add_f32_e32 v12, v37, v91
	v_mul_f32_e32 v13, v109, v102
	s_delay_alu instid0(VALU_DEP_2) | instskip(SKIP_3) | instid1(VALU_DEP_3)
	v_fma_f32 v12, -0.5, v12, v113
	v_mul_f32_e32 v119, v134, v72
	v_fma_f32 v72, v146, v28, -v26
	v_mul_f32_e32 v28, v147, v88
	v_dual_mul_f32 v26, v143, v86 :: v_dual_fmac_f32 v119, v133, v71
	v_mul_f32_e32 v71, v17, v100
	s_delay_alu instid0(VALU_DEP_3) | instskip(SKIP_2) | instid1(VALU_DEP_4)
	v_fma_f32 v47, v148, v87, -v28
	v_sub_f32_e32 v28, v25, v24
	v_sub_f32_e32 v17, v111, v24
	v_dual_fmac_f32 v71, v16, v99 :: v_dual_mul_f32 v16, v14, v104
	v_dual_mul_f32 v123, v132, v76 :: v_dual_sub_f32 v20, v149, v91
	v_mul_f32_e32 v39, v131, v76
	v_dual_add_f32 v14, v113, v32 :: v_dual_sub_f32 v19, v91, v149
	s_delay_alu instid0(VALU_DEP_3)
	v_fmac_f32_e32 v123, v131, v75
	v_fma_f32 v131, v142, v81, -v40
	v_fma_f32 v40, v15, v103, -v16
	v_sub_f32_e32 v16, v32, v37
	v_fma_f32 v126, v132, v75, -v39
	v_sub_f32_e32 v15, v153, v25
	v_mul_f32_e32 v127, v136, v80
	v_fma_f32 v76, v144, v85, -v26
	v_add_f32_e32 v22, v16, v20
	v_dual_mul_f32 v39, v135, v80 :: v_dual_sub_f32 v26, v37, v91
	v_dual_sub_f32 v80, v36, v35 :: v_dual_add_f32 v81, v115, v122
	v_add_f32_e32 v89, v123, v128
	s_delay_alu instid0(VALU_DEP_3) | instskip(SKIP_2) | instid1(VALU_DEP_3)
	v_fma_f32 v130, v136, v79, -v39
	v_fma_f32 v39, v110, v101, -v13
	v_mul_f32_e32 v13, v117, v106
	v_sub_f32_e32 v87, v129, v130
	v_add_f32_e32 v90, v129, v130
	s_delay_alu instid0(VALU_DEP_3) | instskip(SKIP_3) | instid1(VALU_DEP_3)
	v_fma_f32 v43, v118, v105, -v13
	v_dual_add_f32 v13, v14, v37 :: v_dual_fmamk_f32 v14, v15, 0xbf737871, v12
	v_fmac_f32_e32 v12, 0x3f737871, v15
	v_mul_f32_e32 v75, v140, v31
	v_dual_add_f32 v13, v13, v91 :: v_dual_fmac_f32 v14, 0xbf167918, v17
	s_delay_alu instid0(VALU_DEP_3) | instskip(SKIP_1) | instid1(VALU_DEP_3)
	v_fmac_f32_e32 v12, 0x3f167918, v17
	v_sub_f32_e32 v91, v126, v129
	v_add_f32_e32 v20, v13, v149
	s_delay_alu instid0(VALU_DEP_4) | instskip(NEXT) | instid1(VALU_DEP_4)
	v_dual_fmac_f32 v14, 0x3e9e377a, v22 :: v_dual_sub_f32 v13, v37, v32
	v_fmac_f32_e32 v12, 0x3e9e377a, v22
	v_sub_f32_e32 v22, v153, v111
	v_fma_f32 v57, v23, v97, -v21
	v_add_f32_e32 v21, v32, v149
	v_add_f32_e32 v23, v111, v24
	s_delay_alu instid0(VALU_DEP_4) | instskip(SKIP_1) | instid1(VALU_DEP_3)
	v_dual_add_f32 v19, v13, v19 :: v_dual_add_f32 v28, v22, v28
	v_dual_sub_f32 v22, v111, v153 :: v_dual_add_f32 v37, v34, v35
	v_fma_f32 v13, -0.5, v23, v114
	v_dual_sub_f32 v23, v32, v149 :: v_dual_add_f32 v32, v150, v27
	v_fma_f32 v16, -0.5, v21, v113
	v_fmac_f32_e32 v127, v135, v79
	v_mul_f32_e32 v29, v139, v31
	v_sub_f32_e32 v31, v27, v152
	s_delay_alu instid0(VALU_DEP_4) | instskip(SKIP_1) | instid1(VALU_DEP_4)
	v_dual_sub_f32 v97, v131, v130 :: v_dual_fmamk_f32 v18, v17, 0x3f737871, v16
	v_fmac_f32_e32 v16, 0xbf737871, v17
	v_fma_f32 v73, v140, v30, -v29
	s_delay_alu instid0(VALU_DEP_3) | instskip(NEXT) | instid1(VALU_DEP_4)
	v_dual_sub_f32 v88, v128, v127 :: v_dual_add_f32 v91, v91, v97
	v_dual_fmac_f32 v18, 0xbf167918, v15 :: v_dual_fmac_f32 v75, v139, v30
	v_dual_sub_f32 v30, v34, v35 :: v_dual_mul_f32 v79, v144, v86
	v_dual_fmac_f32 v16, 0x3f167918, v15 :: v_dual_add_f32 v21, v114, v153
	v_fmamk_f32 v15, v23, 0x3f737871, v13
	v_fmac_f32_e32 v13, 0xbf737871, v23
	s_delay_alu instid0(VALU_DEP_4) | instskip(NEXT) | instid1(VALU_DEP_4)
	v_dual_fmac_f32 v79, v143, v85 :: v_dual_add_f32 v86, v6, v123
	v_add_f32_e32 v17, v21, v111
	s_delay_alu instid0(VALU_DEP_4) | instskip(NEXT) | instid1(VALU_DEP_4)
	v_fmac_f32_e32 v15, 0x3f167918, v26
	v_fmac_f32_e32 v13, 0xbf167918, v26
	v_sub_f32_e32 v100, v73, v74
	s_delay_alu instid0(VALU_DEP_4) | instskip(NEXT) | instid1(VALU_DEP_4)
	v_dual_add_f32 v102, v78, v79 :: v_dual_add_f32 v21, v17, v24
	v_fmac_f32_e32 v15, 0x3e9e377a, v28
	s_delay_alu instid0(VALU_DEP_4) | instskip(SKIP_1) | instid1(VALU_DEP_4)
	v_dual_fmac_f32 v13, 0x3e9e377a, v28 :: v_dual_sub_f32 v28, v150, v151
	v_sub_f32_e32 v24, v24, v25
	v_add_f32_e32 v21, v21, v25
	v_add_f32_e32 v85, v124, v127
	v_sub_f32_e32 v97, v130, v131
	v_add_f32_e32 v31, v28, v31
	v_add_f32_e32 v17, v153, v25
	;; [unrolled: 1-line block ×4, first 2 shown]
	v_dual_add_f32 v24, v10, v150 :: v_dual_sub_f32 v101, v79, v77
	s_delay_alu instid0(VALU_DEP_4) | instskip(NEXT) | instid1(VALU_DEP_4)
	v_fma_f32 v17, -0.5, v17, v114
	v_fma_f32 v22, -0.5, v25, v10
	v_sub_f32_e32 v25, v33, v36
	v_fma_f32 v10, -0.5, v32, v10
	v_add_f32_e32 v32, v11, v33
	v_fmac_f32_e32 v18, 0x3e9e377a, v19
	v_fmac_f32_e32 v16, 0x3e9e377a, v19
	v_fmamk_f32 v19, v26, 0xbf737871, v17
	v_dual_fmac_f32 v17, 0x3f737871, v26 :: v_dual_add_f32 v26, v24, v151
	v_fmamk_f32 v24, v25, 0xbf737871, v22
	v_fmac_f32_e32 v22, 0x3f737871, v25
	s_delay_alu instid0(VALU_DEP_4) | instskip(NEXT) | instid1(VALU_DEP_4)
	v_fmac_f32_e32 v19, 0x3f167918, v23
	v_fmac_f32_e32 v17, 0xbf167918, v23
	s_delay_alu instid0(VALU_DEP_4)
	v_dual_add_f32 v23, v26, v152 :: v_dual_fmac_f32 v24, 0xbf167918, v30
	v_fmamk_f32 v26, v30, 0x3f737871, v10
	v_fmac_f32_e32 v22, 0x3f167918, v30
	v_fmac_f32_e32 v10, 0xbf737871, v30
	v_add_f32_e32 v30, v32, v34
	v_dual_sub_f32 v32, v33, v34 :: v_dual_fmac_f32 v17, 0x3e9e377a, v29
	v_add_f32_e32 v28, v23, v27
	v_dual_sub_f32 v23, v151, v150 :: v_dual_fmac_f32 v24, 0x3e9e377a, v31
	s_delay_alu instid0(VALU_DEP_3)
	v_add_f32_e32 v32, v32, v80
	v_sub_f32_e32 v80, v120, v125
	v_fmac_f32_e32 v19, 0x3e9e377a, v29
	v_dual_sub_f32 v29, v152, v27 :: v_dual_fmac_f32 v26, 0xbf167918, v25
	v_fmac_f32_e32 v22, 0x3e9e377a, v31
	v_dual_fmac_f32 v10, 0x3f167918, v25 :: v_dual_sub_f32 v31, v151, v152
	s_delay_alu instid0(VALU_DEP_3) | instskip(SKIP_3) | instid1(VALU_DEP_4)
	v_add_f32_e32 v29, v23, v29
	v_fma_f32 v23, -0.5, v37, v11
	v_sub_f32_e32 v37, v150, v27
	v_dual_add_f32 v27, v30, v35 :: v_dual_add_f32 v30, v33, v36
	v_fmac_f32_e32 v26, 0x3e9e377a, v29
	v_fmac_f32_e32 v10, 0x3e9e377a, v29
	s_delay_alu instid0(VALU_DEP_4)
	v_fmamk_f32 v25, v37, 0x3f737871, v23
	v_fmac_f32_e32 v23, 0xbf737871, v37
	v_dual_fmac_f32 v11, -0.5, v30 :: v_dual_sub_f32 v30, v34, v33
	v_sub_f32_e32 v33, v35, v36
	v_add_f32_e32 v35, v8, v115
	v_add_f32_e32 v29, v27, v36
	v_fmac_f32_e32 v25, 0x3f167918, v31
	v_dual_fmamk_f32 v27, v31, 0xbf737871, v11 :: v_dual_add_f32 v34, v112, v119
	v_fmac_f32_e32 v23, 0xbf167918, v31
	v_fmac_f32_e32 v11, 0x3f737871, v31
	v_add_f32_e32 v31, v35, v112
	s_delay_alu instid0(VALU_DEP_4)
	v_fmac_f32_e32 v27, 0x3f167918, v37
	v_add_f32_e32 v33, v30, v33
	v_fma_f32 v30, -0.5, v34, v8
	v_sub_f32_e32 v34, v115, v112
	v_dual_sub_f32 v36, v122, v119 :: v_dual_fmac_f32 v11, 0xbf167918, v37
	v_add_f32_e32 v31, v31, v119
	v_fmac_f32_e32 v25, 0x3e9e377a, v32
	v_fmac_f32_e32 v23, 0x3e9e377a, v32
	;; [unrolled: 1-line block ×3, first 2 shown]
	v_fmamk_f32 v32, v80, 0xbf737871, v30
	v_sub_f32_e32 v35, v116, v121
	v_add_f32_e32 v37, v34, v36
	v_fma_f32 v8, -0.5, v81, v8
	v_dual_fmac_f32 v11, 0x3e9e377a, v33 :: v_dual_add_f32 v36, v31, v122
	v_dual_fmac_f32 v30, 0x3f737871, v80 :: v_dual_sub_f32 v31, v112, v115
	v_sub_f32_e32 v33, v119, v122
	v_dual_add_f32 v81, v9, v120 :: v_dual_fmac_f32 v32, 0xbf167918, v35
	v_fmamk_f32 v34, v35, 0x3f737871, v8
	s_delay_alu instid0(VALU_DEP_3) | instskip(NEXT) | instid1(VALU_DEP_3)
	v_dual_fmac_f32 v30, 0x3f167918, v35 :: v_dual_add_f32 v83, v31, v33
	v_dual_fmac_f32 v8, 0xbf737871, v35 :: v_dual_add_f32 v33, v81, v116
	v_add_f32_e32 v98, v75, v77
	v_fma_f32 v31, -0.5, v82, v9
	v_dual_sub_f32 v81, v115, v122 :: v_dual_fmac_f32 v32, 0x3e9e377a, v37
	v_fmac_f32_e32 v34, 0xbf167918, v80
	v_fmac_f32_e32 v30, 0x3e9e377a, v37
	v_dual_fmac_f32 v8, 0x3f167918, v80 :: v_dual_add_f32 v35, v33, v121
	s_delay_alu instid0(VALU_DEP_4) | instskip(SKIP_4) | instid1(VALU_DEP_4)
	v_fmamk_f32 v33, v81, 0x3f737871, v31
	v_add_f32_e32 v37, v120, v125
	v_sub_f32_e32 v82, v112, v119
	v_dual_sub_f32 v80, v120, v116 :: v_dual_fmac_f32 v31, 0xbf737871, v81
	v_fmac_f32_e32 v34, 0x3e9e377a, v83
	v_dual_fmac_f32 v8, 0x3e9e377a, v83 :: v_dual_fmac_f32 v9, -0.5, v37
	s_delay_alu instid0(VALU_DEP_4) | instskip(NEXT) | instid1(VALU_DEP_4)
	v_fmac_f32_e32 v33, 0x3f167918, v82
	v_add_f32_e32 v83, v80, v84
	v_fmac_f32_e32 v31, 0xbf167918, v82
	v_add_f32_e32 v37, v35, v125
	v_dual_fmamk_f32 v35, v82, 0xbf737871, v9 :: v_dual_sub_f32 v80, v116, v120
	s_delay_alu instid0(VALU_DEP_4) | instskip(NEXT) | instid1(VALU_DEP_4)
	v_dual_sub_f32 v84, v121, v125 :: v_dual_fmac_f32 v33, 0x3e9e377a, v83
	v_fmac_f32_e32 v31, 0x3e9e377a, v83
	v_fmac_f32_e32 v9, 0x3f737871, v82
	v_add_f32_e32 v83, v86, v124
	s_delay_alu instid0(VALU_DEP_4)
	v_dual_fmac_f32 v35, 0x3f167918, v81 :: v_dual_add_f32 v84, v80, v84
	v_fma_f32 v80, -0.5, v85, v6
	v_dual_sub_f32 v85, v126, v131 :: v_dual_sub_f32 v86, v123, v124
	v_fmac_f32_e32 v9, 0xbf167918, v81
	v_add_f32_e32 v81, v83, v127
	v_fmac_f32_e32 v35, 0x3e9e377a, v84
	s_delay_alu instid0(VALU_DEP_4)
	v_dual_fmamk_f32 v82, v85, 0xbf737871, v80 :: v_dual_add_f32 v83, v86, v88
	v_fma_f32 v6, -0.5, v89, v6
	v_fmac_f32_e32 v9, 0x3e9e377a, v84
	v_add_f32_e32 v84, v81, v128
	v_dual_fmac_f32 v80, 0x3f737871, v85 :: v_dual_sub_f32 v81, v124, v123
	v_sub_f32_e32 v88, v127, v128
	v_dual_add_f32 v89, v7, v126 :: v_dual_fmac_f32 v82, 0xbf167918, v87
	v_fmamk_f32 v86, v87, 0x3f737871, v6
	s_delay_alu instid0(VALU_DEP_4) | instskip(NEXT) | instid1(VALU_DEP_4)
	v_fmac_f32_e32 v80, 0x3f167918, v87
	v_add_f32_e32 v88, v81, v88
	s_delay_alu instid0(VALU_DEP_4)
	v_dual_fmac_f32 v6, 0xbf737871, v87 :: v_dual_add_f32 v87, v89, v129
	v_fma_f32 v81, -0.5, v90, v7
	v_dual_sub_f32 v89, v123, v128 :: v_dual_fmac_f32 v82, 0x3e9e377a, v83
	v_fmac_f32_e32 v86, 0xbf167918, v85
	v_fmac_f32_e32 v80, 0x3e9e377a, v83
	v_dual_fmac_f32 v6, 0x3f167918, v85 :: v_dual_add_f32 v85, v87, v130
	s_delay_alu instid0(VALU_DEP_4) | instskip(SKIP_3) | instid1(VALU_DEP_3)
	v_fmamk_f32 v83, v89, 0x3f737871, v81
	v_add_f32_e32 v87, v126, v131
	v_dual_sub_f32 v90, v124, v127 :: v_dual_fmac_f32 v81, 0xbf737871, v89
	v_fmac_f32_e32 v86, 0x3e9e377a, v88
	v_dual_fmac_f32 v6, 0x3e9e377a, v88 :: v_dual_fmac_f32 v7, -0.5, v87
	s_delay_alu instid0(VALU_DEP_3)
	v_fmac_f32_e32 v83, 0x3f167918, v90
	v_sub_f32_e32 v88, v129, v126
	v_fmac_f32_e32 v81, 0xbf167918, v90
	v_add_f32_e32 v99, v4, v78
	v_fmamk_f32 v87, v90, 0xbf737871, v7
	v_fmac_f32_e32 v83, 0x3e9e377a, v91
	v_add_f32_e32 v97, v88, v97
	v_fma_f32 v88, -0.5, v98, v4
	v_dual_sub_f32 v98, v72, v76 :: v_dual_fmac_f32 v81, 0x3e9e377a, v91
	v_fmac_f32_e32 v7, 0x3f737871, v90
	v_add_f32_e32 v91, v99, v75
	v_fmac_f32_e32 v87, 0x3f167918, v89
	s_delay_alu instid0(VALU_DEP_4)
	v_fmamk_f32 v90, v98, 0xbf737871, v88
	v_sub_f32_e32 v99, v78, v75
	v_fmac_f32_e32 v7, 0xbf167918, v89
	v_add_f32_e32 v89, v91, v77
	v_fma_f32 v4, -0.5, v102, v4
	v_fmac_f32_e32 v88, 0x3f737871, v98
	v_dual_add_f32 v102, v5, v72 :: v_dual_fmac_f32 v87, 0x3e9e377a, v97
	v_dual_fmac_f32 v90, 0xbf167918, v100 :: v_dual_add_f32 v91, v99, v101
	v_fmac_f32_e32 v7, 0x3e9e377a, v97
	v_add_f32_e32 v97, v89, v79
	v_fmamk_f32 v99, v100, 0x3f737871, v4
	v_sub_f32_e32 v89, v75, v78
	v_dual_sub_f32 v101, v77, v79 :: v_dual_fmac_f32 v88, 0x3f167918, v100
	v_dual_add_f32 v103, v73, v74 :: v_dual_fmac_f32 v4, 0xbf737871, v100
	s_delay_alu instid0(VALU_DEP_4) | instskip(NEXT) | instid1(VALU_DEP_3)
	v_dual_add_f32 v100, v102, v73 :: v_dual_fmac_f32 v99, 0xbf167918, v98
	v_add_f32_e32 v101, v89, v101
	s_delay_alu instid0(VALU_DEP_3)
	v_fma_f32 v89, -0.5, v103, v5
	v_sub_f32_e32 v78, v78, v79
	v_fmac_f32_e32 v4, 0x3f167918, v98
	v_add_f32_e32 v79, v100, v74
	v_add_f32_e32 v98, v72, v76
	v_fmac_f32_e32 v90, 0x3e9e377a, v91
	v_fmac_f32_e32 v88, 0x3e9e377a, v91
	v_fmamk_f32 v91, v78, 0x3f737871, v89
	v_sub_f32_e32 v75, v75, v77
	v_sub_f32_e32 v77, v72, v73
	;; [unrolled: 1-line block ×3, first 2 shown]
	v_dual_fmac_f32 v5, -0.5, v98 :: v_dual_add_f32 v98, v79, v76
	v_dual_fmac_f32 v89, 0xbf737871, v78 :: v_dual_sub_f32 v72, v73, v72
	v_sub_f32_e32 v73, v74, v76
	v_dual_add_f32 v76, v2, v70 :: v_dual_fmac_f32 v91, 0x3f167918, v75
	s_delay_alu instid0(VALU_DEP_4) | instskip(NEXT) | instid1(VALU_DEP_4)
	v_dual_add_f32 v77, v77, v100 :: v_dual_fmamk_f32 v100, v75, 0xbf737871, v5
	v_dual_add_f32 v74, v67, v68 :: v_dual_fmac_f32 v89, 0xbf167918, v75
	v_fmac_f32_e32 v5, 0x3f737871, v75
	s_delay_alu instid0(VALU_DEP_4)
	v_add_f32_e32 v75, v76, v67
	v_fmac_f32_e32 v99, 0x3e9e377a, v101
	v_fmac_f32_e32 v4, 0x3e9e377a, v101
	v_dual_fmac_f32 v100, 0x3f167918, v78 :: v_dual_add_f32 v73, v72, v73
	v_fma_f32 v72, -0.5, v74, v2
	v_dual_sub_f32 v79, v47, v69 :: v_dual_sub_f32 v76, v70, v67
	v_dual_sub_f32 v101, v71, v68 :: v_dual_add_f32 v102, v70, v71
	v_fmac_f32_e32 v5, 0xbf167918, v78
	v_add_f32_e32 v75, v75, v68
	v_fmac_f32_e32 v91, 0x3e9e377a, v77
	v_fmac_f32_e32 v89, 0x3e9e377a, v77
	v_fmac_f32_e32 v100, 0x3e9e377a, v73
	v_dual_fmamk_f32 v74, v79, 0xbf737871, v72 :: v_dual_sub_f32 v77, v49, v57
	v_add_f32_e32 v101, v76, v101
	v_fma_f32 v2, -0.5, v102, v2
	v_dual_fmac_f32 v5, 0x3e9e377a, v73 :: v_dual_add_f32 v76, v75, v71
	v_dual_fmac_f32 v72, 0x3f737871, v79 :: v_dual_sub_f32 v73, v67, v70
	v_sub_f32_e32 v75, v68, v71
	v_dual_add_f32 v102, v3, v47 :: v_dual_add_f32 v103, v49, v57
	v_fmac_f32_e32 v74, 0xbf167918, v77
	v_fmamk_f32 v78, v77, 0x3f737871, v2
	v_fmac_f32_e32 v72, 0x3f167918, v77
	v_add_f32_e32 v104, v73, v75
	v_fmac_f32_e32 v2, 0xbf737871, v77
	v_add_f32_e32 v75, v102, v49
	v_fma_f32 v73, -0.5, v103, v3
	v_dual_sub_f32 v70, v70, v71 :: v_dual_add_f32 v77, v47, v69
	v_fmac_f32_e32 v78, 0xbf167918, v79
	s_delay_alu instid0(VALU_DEP_4) | instskip(NEXT) | instid1(VALU_DEP_3)
	v_dual_fmac_f32 v2, 0x3f167918, v79 :: v_dual_add_f32 v71, v75, v57
	v_fmamk_f32 v75, v70, 0x3f737871, v73
	v_sub_f32_e32 v67, v67, v68
	v_sub_f32_e32 v68, v47, v49
	;; [unrolled: 1-line block ×3, first 2 shown]
	v_fmac_f32_e32 v3, -0.5, v77
	v_fmac_f32_e32 v73, 0xbf737871, v70
	v_sub_f32_e32 v47, v49, v47
	v_sub_f32_e32 v49, v57, v69
	v_add_f32_e32 v57, v41, v44
	v_fmac_f32_e32 v75, 0x3f167918, v67
	v_dual_add_f32 v68, v68, v79 :: v_dual_fmamk_f32 v79, v67, 0xbf737871, v3
	v_fmac_f32_e32 v73, 0xbf167918, v67
	v_add_f32_e32 v47, v47, v49
	v_fmac_f32_e32 v3, 0x3f737871, v67
	v_add_f32_e32 v49, v0, v42
	v_fma_f32 v67, -0.5, v57, v0
	v_sub_f32_e32 v57, v39, v45
	v_add_f32_e32 v77, v71, v69
	v_fmac_f32_e32 v75, 0x3e9e377a, v68
	v_fmac_f32_e32 v79, 0x3f167918, v70
	;; [unrolled: 1-line block ×4, first 2 shown]
	v_add_f32_e32 v49, v49, v41
	v_dual_fmamk_f32 v69, v57, 0xbf737871, v67 :: v_dual_sub_f32 v68, v40, v43
	v_sub_f32_e32 v70, v42, v41
	v_sub_f32_e32 v71, v46, v44
	v_fmac_f32_e32 v67, 0x3f737871, v57
	v_dual_add_f32 v85, v85, v131 :: v_dual_fmac_f32 v72, 0x3e9e377a, v101
	v_dual_fmac_f32 v74, 0x3e9e377a, v101 :: v_dual_add_f32 v101, v42, v46
	v_add_f32_e32 v49, v49, v44
	v_dual_fmac_f32 v69, 0xbf167918, v68 :: v_dual_add_f32 v70, v70, v71
	v_fmac_f32_e32 v67, 0x3f167918, v68
	s_delay_alu instid0(VALU_DEP_4) | instskip(NEXT) | instid1(VALU_DEP_4)
	v_fma_f32 v0, -0.5, v101, v0
	v_add_f32_e32 v101, v49, v46
	v_sub_f32_e32 v49, v41, v42
	v_fmac_f32_e32 v69, 0x3e9e377a, v70
	v_fmac_f32_e32 v67, 0x3e9e377a, v70
	v_dual_sub_f32 v70, v44, v46 :: v_dual_fmac_f32 v79, 0x3e9e377a, v47
	v_fmac_f32_e32 v3, 0x3e9e377a, v47
	v_fmamk_f32 v103, v68, 0x3f737871, v0
	v_dual_add_f32 v47, v40, v43 :: v_dual_fmac_f32 v0, 0xbf737871, v68
	v_dual_add_f32 v71, v1, v39 :: v_dual_sub_f32 v42, v42, v46
	v_dual_add_f32 v46, v49, v70 :: v_dual_add_f32 v49, v39, v45
	s_delay_alu instid0(VALU_DEP_3) | instskip(SKIP_1) | instid1(VALU_DEP_4)
	v_fma_f32 v68, -0.5, v47, v1
	v_fmac_f32_e32 v103, 0xbf167918, v57
	v_dual_fmac_f32 v0, 0x3f167918, v57 :: v_dual_add_f32 v47, v71, v40
	v_sub_f32_e32 v41, v41, v44
	v_dual_fmac_f32 v1, -0.5, v49 :: v_dual_fmac_f32 v78, 0x3e9e377a, v104
	v_fmac_f32_e32 v2, 0x3e9e377a, v104
	v_fmamk_f32 v70, v42, 0x3f737871, v68
	v_fmac_f32_e32 v103, 0x3e9e377a, v46
	v_fmac_f32_e32 v0, 0x3e9e377a, v46
	v_add_f32_e32 v44, v47, v43
	v_dual_sub_f32 v46, v39, v40 :: v_dual_sub_f32 v47, v45, v43
	v_fmac_f32_e32 v68, 0xbf737871, v42
	v_dual_fmamk_f32 v104, v41, 0xbf737871, v1 :: v_dual_sub_f32 v39, v40, v39
	v_sub_f32_e32 v40, v43, v45
	v_fmac_f32_e32 v1, 0x3f737871, v41
	v_dual_fmac_f32 v70, 0x3f167918, v41 :: v_dual_add_f32 v43, v46, v47
	v_fmac_f32_e32 v68, 0xbf167918, v41
	s_delay_alu instid0(VALU_DEP_4) | instskip(NEXT) | instid1(VALU_DEP_4)
	v_dual_fmac_f32 v104, 0x3f167918, v42 :: v_dual_add_f32 v39, v39, v40
	v_dual_fmac_f32 v1, 0xbf167918, v42 :: v_dual_add_f32 v102, v44, v45
	s_delay_alu instid0(VALU_DEP_4) | instskip(NEXT) | instid1(VALU_DEP_4)
	v_fmac_f32_e32 v70, 0x3e9e377a, v43
	v_fmac_f32_e32 v68, 0x3e9e377a, v43
	s_delay_alu instid0(VALU_DEP_4) | instskip(NEXT) | instid1(VALU_DEP_4)
	v_fmac_f32_e32 v104, 0x3e9e377a, v39
	v_fmac_f32_e32 v1, 0x3e9e377a, v39
	ds_store_b64 v93, v[20:21]
	ds_store_b64 v93, v[14:15] offset:3136
	ds_store_b64 v93, v[18:19] offset:6272
	ds_store_b64 v93, v[16:17] offset:9408
	ds_store_b64 v93, v[12:13] offset:12544
	ds_store_b64 v94, v[28:29]
	ds_store_b64 v94, v[24:25] offset:3136
	ds_store_b64 v94, v[26:27] offset:6272
	ds_store_b64 v94, v[10:11] offset:9408
	ds_store_b64 v94, v[22:23] offset:12544
	;; [unrolled: 5-line block ×7, first 2 shown]
	s_waitcnt lgkmcnt(0)
	s_barrier
	buffer_gl0_inv
	ds_load_b64 v[4:5], v93
	v_lshlrev_b32_e32 v0, 3, v48
                                        ; implicit-def: $vgpr3
                                        ; implicit-def: $vgpr7
	s_delay_alu instid0(VALU_DEP_1)
	v_sub_nc_u32_e32 v6, 0, v0
                                        ; implicit-def: $vgpr0_vgpr1
	v_cmpx_ne_u32_e32 0, v48
	s_xor_b32 s4, exec_lo, s4
	s_cbranch_execz .LBB0_21
; %bb.20:
	ds_load_b64 v[2:3], v6 offset:15680
	s_waitcnt lgkmcnt(0)
	v_dual_mov_b32 v49, 0 :: v_dual_add_f32 v8, v3, v5
	s_delay_alu instid0(VALU_DEP_1) | instskip(SKIP_1) | instid1(VALU_DEP_3)
	v_lshlrev_b64 v[0:1], 3, v[48:49]
	v_dual_sub_f32 v7, v4, v2 :: v_dual_add_f32 v2, v2, v4
	v_dual_sub_f32 v3, v5, v3 :: v_dual_mul_f32 v4, 0.5, v8
	s_delay_alu instid0(VALU_DEP_3) | instskip(NEXT) | instid1(VALU_DEP_1)
	v_add_co_u32 v0, s1, s2, v0
	v_add_co_ci_u32_e64 v1, s1, s3, v1, s1
	s_delay_alu instid0(VALU_DEP_4) | instskip(NEXT) | instid1(VALU_DEP_4)
	v_mul_f32_e32 v5, 0.5, v7
	v_mul_f32_e32 v3, 0.5, v3
	global_load_b64 v[0:1], v[0:1], off
	s_waitcnt vmcnt(0)
	v_mul_f32_e32 v7, v1, v5
	v_fma_f32 v8, v4, v1, v3
	v_fma_f32 v1, v4, v1, -v3
	s_delay_alu instid0(VALU_DEP_3) | instskip(SKIP_1) | instid1(VALU_DEP_4)
	v_fma_f32 v9, 0.5, v2, v7
	v_fma_f32 v2, v2, 0.5, -v7
	v_fma_f32 v7, -v0, v5, v8
	s_delay_alu instid0(VALU_DEP_4) | instskip(NEXT) | instid1(VALU_DEP_4)
	v_fma_f32 v3, -v0, v5, v1
	v_fmac_f32_e32 v9, v0, v4
	s_delay_alu instid0(VALU_DEP_4)
	v_fma_f32 v2, -v0, v4, v2
	v_dual_mov_b32 v0, v48 :: v_dual_mov_b32 v1, v49
                                        ; implicit-def: $vgpr4_vgpr5
	ds_store_b32 v93, v9
.LBB0_21:
	s_and_not1_saveexec_b32 s1, s4
	s_cbranch_execz .LBB0_23
; %bb.22:
	s_waitcnt lgkmcnt(0)
	v_dual_mov_b32 v7, 0 :: v_dual_add_f32 v8, v4, v5
	v_sub_f32_e32 v2, v4, v5
	ds_load_b32 v0, v7 offset:7844
	v_mov_b32_e32 v3, v7
	s_waitcnt lgkmcnt(0)
	v_xor_b32_e32 v4, 0x80000000, v0
	v_mov_b32_e32 v0, 0
	v_mov_b32_e32 v1, 0
	ds_store_b32 v93, v8
	ds_store_b32 v7, v4 offset:7844
.LBB0_23:
	s_or_b32 exec_lo, exec_lo, s1
	v_mov_b32_e32 v57, 0
	v_lshlrev_b64 v[0:1], 3, v[0:1]
	s_waitcnt lgkmcnt(0)
	s_delay_alu instid0(VALU_DEP_2) | instskip(SKIP_1) | instid1(VALU_DEP_1)
	v_lshlrev_b64 v[4:5], 3, v[56:57]
	v_mov_b32_e32 v67, v57
	v_lshlrev_b64 v[8:9], 3, v[66:67]
	s_delay_alu instid0(VALU_DEP_3) | instskip(NEXT) | instid1(VALU_DEP_1)
	v_add_co_u32 v4, s1, s2, v4
	v_add_co_ci_u32_e64 v5, s1, s3, v5, s1
	v_mov_b32_e32 v66, v57
	s_delay_alu instid0(VALU_DEP_4)
	v_add_co_u32 v8, s1, s2, v8
	global_load_b64 v[4:5], v[4:5], off
	v_add_co_ci_u32_e64 v9, s1, s3, v9, s1
	v_lshlrev_b64 v[10:11], 3, v[65:66]
	v_mov_b32_e32 v65, v57
	global_load_b64 v[8:9], v[8:9], off
	v_add_co_u32 v10, s1, s2, v10
	s_delay_alu instid0(VALU_DEP_1) | instskip(SKIP_4) | instid1(VALU_DEP_1)
	v_add_co_ci_u32_e64 v11, s1, s3, v11, s1
	v_lshlrev_b64 v[12:13], 3, v[64:65]
	v_mov_b32_e32 v64, v57
	global_load_b64 v[10:11], v[10:11], off
	v_add_co_u32 v12, s1, s2, v12
	v_add_co_ci_u32_e64 v13, s1, s3, v13, s1
	v_lshlrev_b64 v[14:15], 3, v[63:64]
	global_load_b64 v[12:13], v[12:13], off
	v_mov_b32_e32 v63, v57
	v_add_co_u32 v14, s1, s2, v14
	s_delay_alu instid0(VALU_DEP_1) | instskip(NEXT) | instid1(VALU_DEP_3)
	v_add_co_ci_u32_e64 v15, s1, s3, v15, s1
	v_lshlrev_b64 v[16:17], 3, v[62:63]
	v_mov_b32_e32 v62, v57
	global_load_b64 v[14:15], v[14:15], off
	v_add_co_u32 v16, s1, s2, v16
	s_delay_alu instid0(VALU_DEP_1)
	v_add_co_ci_u32_e64 v17, s1, s3, v17, s1
	v_lshlrev_b64 v[18:19], 3, v[61:62]
	global_load_b64 v[16:17], v[16:17], off
	ds_store_b32 v93, v7 offset:4
	ds_store_b64 v6, v[2:3] offset:15680
	v_add_co_u32 v2, s1, s2, v18
	s_delay_alu instid0(VALU_DEP_1)
	v_add_co_ci_u32_e64 v3, s1, s3, v19, s1
	ds_load_b64 v[18:19], v94
	ds_load_b64 v[20:21], v6 offset:15232
	global_load_b64 v[22:23], v[2:3], off
	s_waitcnt lgkmcnt(0)
	v_dual_sub_f32 v2, v18, v20 :: v_dual_add_f32 v3, v19, v21
	v_sub_f32_e32 v7, v19, v21
	s_delay_alu instid0(VALU_DEP_2) | instskip(NEXT) | instid1(VALU_DEP_2)
	v_dual_mul_f32 v21, 0.5, v2 :: v_dual_mul_f32 v24, 0.5, v3
	v_dual_mul_f32 v2, 0.5, v7 :: v_dual_add_f32 v3, v18, v20
	s_waitcnt vmcnt(6)
	s_delay_alu instid0(VALU_DEP_2) | instskip(NEXT) | instid1(VALU_DEP_2)
	v_mul_f32_e32 v7, v5, v21
	v_fma_f32 v20, v24, v5, v2
	v_fma_f32 v5, v24, v5, -v2
	s_delay_alu instid0(VALU_DEP_3) | instskip(SKIP_1) | instid1(VALU_DEP_4)
	v_fma_f32 v2, 0.5, v3, v7
	v_fma_f32 v7, v3, 0.5, -v7
	v_fma_f32 v3, -v4, v21, v20
	s_delay_alu instid0(VALU_DEP_4) | instskip(NEXT) | instid1(VALU_DEP_4)
	v_fma_f32 v5, -v4, v21, v5
	v_fmac_f32_e32 v2, v4, v24
	s_delay_alu instid0(VALU_DEP_4)
	v_fma_f32 v4, -v4, v24, v7
	ds_store_b64 v94, v[2:3]
	ds_store_b64 v6, v[4:5] offset:15232
	ds_load_b64 v[2:3], v59
	ds_load_b64 v[4:5], v6 offset:14784
	s_waitcnt lgkmcnt(0)
	v_dual_mov_b32 v61, v57 :: v_dual_add_f32 v20, v3, v5
	s_delay_alu instid0(VALU_DEP_1) | instskip(SKIP_2) | instid1(VALU_DEP_4)
	v_lshlrev_b64 v[18:19], 3, v[60:61]
	v_sub_f32_e32 v7, v2, v4
	v_dual_sub_f32 v3, v3, v5 :: v_dual_add_f32 v4, v2, v4
	v_mul_f32_e32 v20, 0.5, v20
	s_delay_alu instid0(VALU_DEP_4) | instskip(NEXT) | instid1(VALU_DEP_1)
	v_add_co_u32 v18, s1, s2, v18
	v_add_co_ci_u32_e64 v19, s1, s3, v19, s1
	v_mul_f32_e32 v7, 0.5, v7
	v_mul_f32_e32 v3, 0.5, v3
	global_load_b64 v[18:19], v[18:19], off
	s_waitcnt vmcnt(6)
	v_mul_f32_e32 v5, v9, v7
	v_fma_f32 v21, v20, v9, v3
	v_fma_f32 v9, v20, v9, -v3
	s_delay_alu instid0(VALU_DEP_3) | instskip(SKIP_2) | instid1(VALU_DEP_1)
	v_fma_f32 v2, 0.5, v4, v5
	v_fma_f32 v24, v4, 0.5, -v5
	v_add_co_u32 v4, s1, s2, v0
	v_add_co_ci_u32_e64 v5, s1, s3, v1, s1
	s_delay_alu instid0(VALU_DEP_4)
	v_fmac_f32_e32 v2, v8, v20
	v_fma_f32 v3, -v8, v7, v21
	v_fma_f32 v9, -v8, v7, v9
	;; [unrolled: 1-line block ×3, first 2 shown]
	global_load_b64 v[20:21], v[4:5], off offset:4032
	ds_store_b64 v59, v[2:3]
	ds_store_b64 v6, v[8:9] offset:14784
	ds_load_b64 v[2:3], v53
	ds_load_b64 v[7:8], v6 offset:14336
	s_waitcnt lgkmcnt(0)
	v_dual_add_f32 v24, v3, v8 :: v_dual_sub_f32 v9, v2, v7
	v_dual_sub_f32 v3, v3, v8 :: v_dual_add_f32 v2, v2, v7
	s_delay_alu instid0(VALU_DEP_2) | instskip(SKIP_1) | instid1(VALU_DEP_1)
	v_dual_mul_f32 v24, 0.5, v24 :: v_dual_mul_f32 v9, 0.5, v9
	s_waitcnt vmcnt(6)
	v_dual_mul_f32 v3, 0.5, v3 :: v_dual_mul_f32 v8, v11, v9
	s_delay_alu instid0(VALU_DEP_1) | instskip(SKIP_1) | instid1(VALU_DEP_3)
	v_fma_f32 v25, v24, v11, v3
	v_fma_f32 v3, v24, v11, -v3
	v_fma_f32 v7, 0.5, v2, v8
	v_fma_f32 v2, v2, 0.5, -v8
	s_delay_alu instid0(VALU_DEP_4) | instskip(NEXT) | instid1(VALU_DEP_4)
	v_fma_f32 v8, -v10, v9, v25
	v_fma_f32 v11, -v10, v9, v3
	s_delay_alu instid0(VALU_DEP_4) | instskip(NEXT) | instid1(VALU_DEP_4)
	v_fmac_f32_e32 v7, v10, v24
	v_fma_f32 v10, -v10, v24, v2
	v_add_co_u32 v2, s1, 0x1000, v4
	s_delay_alu instid0(VALU_DEP_1)
	v_add_co_ci_u32_e64 v3, s1, 0, v5, s1
	ds_store_b64 v53, v[7:8]
	ds_store_b64 v6, v[10:11] offset:14336
	ds_load_b64 v[4:5], v51
	ds_load_b64 v[7:8], v6 offset:13888
	global_load_b64 v[9:10], v[2:3], off offset:384
	s_waitcnt lgkmcnt(0)
	v_dual_sub_f32 v11, v4, v7 :: v_dual_add_f32 v24, v5, v8
	v_sub_f32_e32 v5, v5, v8
	v_add_f32_e32 v7, v4, v7
	s_delay_alu instid0(VALU_DEP_3) | instskip(SKIP_1) | instid1(VALU_DEP_1)
	v_dual_mul_f32 v8, 0.5, v11 :: v_dual_mul_f32 v11, 0.5, v24
	s_waitcnt vmcnt(6)
	v_dual_mul_f32 v5, 0.5, v5 :: v_dual_mul_f32 v24, v13, v8
	s_delay_alu instid0(VALU_DEP_1) | instskip(SKIP_1) | instid1(VALU_DEP_3)
	v_fma_f32 v25, v11, v13, v5
	v_fma_f32 v13, v11, v13, -v5
	v_fma_f32 v4, 0.5, v7, v24
	v_fma_f32 v7, v7, 0.5, -v24
	s_delay_alu instid0(VALU_DEP_4) | instskip(NEXT) | instid1(VALU_DEP_4)
	v_fma_f32 v5, -v12, v8, v25
	v_fma_f32 v8, -v12, v8, v13
	s_delay_alu instid0(VALU_DEP_4) | instskip(NEXT) | instid1(VALU_DEP_4)
	v_fmac_f32_e32 v4, v12, v11
	v_fma_f32 v7, -v12, v11, v7
	ds_store_b64 v51, v[4:5]
	ds_store_b64 v6, v[7:8] offset:13888
	ds_load_b64 v[4:5], v38
	ds_load_b64 v[7:8], v6 offset:13440
	global_load_b64 v[11:12], v[2:3], off offset:832
	v_mov_b32_e32 v59, v57
	s_waitcnt lgkmcnt(0)
	v_dual_sub_f32 v13, v4, v7 :: v_dual_add_f32 v24, v5, v8
	v_sub_f32_e32 v5, v5, v8
	s_delay_alu instid0(VALU_DEP_2) | instskip(NEXT) | instid1(VALU_DEP_3)
	v_dual_add_f32 v7, v4, v7 :: v_dual_mul_f32 v8, 0.5, v13
	v_mul_f32_e32 v13, 0.5, v24
	s_waitcnt vmcnt(6)
	s_delay_alu instid0(VALU_DEP_2) | instskip(NEXT) | instid1(VALU_DEP_1)
	v_dual_mul_f32 v5, 0.5, v5 :: v_dual_mul_f32 v24, v15, v8
	v_fma_f32 v25, v13, v15, v5
	v_fma_f32 v15, v13, v15, -v5
	s_delay_alu instid0(VALU_DEP_3) | instskip(SKIP_1) | instid1(VALU_DEP_4)
	v_fma_f32 v4, 0.5, v7, v24
	v_fma_f32 v7, v7, 0.5, -v24
	v_fma_f32 v5, -v14, v8, v25
	s_delay_alu instid0(VALU_DEP_4) | instskip(NEXT) | instid1(VALU_DEP_4)
	v_fma_f32 v8, -v14, v8, v15
	v_fmac_f32_e32 v4, v14, v13
	s_delay_alu instid0(VALU_DEP_4)
	v_fma_f32 v7, -v14, v13, v7
	ds_store_b64 v38, v[4:5]
	ds_store_b64 v6, v[7:8] offset:13440
	ds_load_b64 v[4:5], v96
	ds_load_b64 v[7:8], v6 offset:12992
	global_load_b64 v[13:14], v[2:3], off offset:1280
	s_waitcnt lgkmcnt(0)
	v_dual_sub_f32 v15, v4, v7 :: v_dual_add_f32 v24, v5, v8
	v_sub_f32_e32 v5, v5, v8
	v_add_f32_e32 v7, v4, v7
	s_delay_alu instid0(VALU_DEP_3) | instskip(SKIP_1) | instid1(VALU_DEP_1)
	v_dual_mul_f32 v8, 0.5, v15 :: v_dual_mul_f32 v15, 0.5, v24
	s_waitcnt vmcnt(6)
	v_dual_mul_f32 v5, 0.5, v5 :: v_dual_mul_f32 v24, v17, v8
	s_delay_alu instid0(VALU_DEP_1) | instskip(SKIP_1) | instid1(VALU_DEP_3)
	v_fma_f32 v25, v15, v17, v5
	v_fma_f32 v17, v15, v17, -v5
	v_fma_f32 v4, 0.5, v7, v24
	v_fma_f32 v7, v7, 0.5, -v24
	s_delay_alu instid0(VALU_DEP_4) | instskip(NEXT) | instid1(VALU_DEP_4)
	v_fma_f32 v5, -v16, v8, v25
	v_fma_f32 v8, -v16, v8, v17
	s_delay_alu instid0(VALU_DEP_4) | instskip(NEXT) | instid1(VALU_DEP_4)
	v_fmac_f32_e32 v4, v16, v15
	v_fma_f32 v7, -v16, v15, v7
	ds_store_b64 v96, v[4:5]
	ds_store_b64 v6, v[7:8] offset:12992
	ds_load_b64 v[4:5], v95
	ds_load_b64 v[7:8], v6 offset:12544
	global_load_b64 v[15:16], v[2:3], off offset:1728
	s_waitcnt lgkmcnt(0)
	v_dual_sub_f32 v17, v4, v7 :: v_dual_add_f32 v24, v5, v8
	v_sub_f32_e32 v5, v5, v8
	s_delay_alu instid0(VALU_DEP_2) | instskip(NEXT) | instid1(VALU_DEP_3)
	v_dual_add_f32 v7, v4, v7 :: v_dual_mul_f32 v8, 0.5, v17
	v_mul_f32_e32 v17, 0.5, v24
	s_waitcnt vmcnt(6)
	s_delay_alu instid0(VALU_DEP_2) | instskip(NEXT) | instid1(VALU_DEP_1)
	v_dual_mul_f32 v5, 0.5, v5 :: v_dual_mul_f32 v24, v23, v8
	v_fma_f32 v25, v17, v23, v5
	v_fma_f32 v23, v17, v23, -v5
	s_delay_alu instid0(VALU_DEP_3) | instskip(SKIP_1) | instid1(VALU_DEP_4)
	v_fma_f32 v4, 0.5, v7, v24
	v_fma_f32 v7, v7, 0.5, -v24
	v_fma_f32 v5, -v22, v8, v25
	s_delay_alu instid0(VALU_DEP_4) | instskip(NEXT) | instid1(VALU_DEP_4)
	v_fma_f32 v8, -v22, v8, v23
	v_fmac_f32_e32 v4, v22, v17
	s_delay_alu instid0(VALU_DEP_4)
	v_fma_f32 v7, -v22, v17, v7
	ds_store_b64 v95, v[4:5]
	ds_store_b64 v6, v[7:8] offset:12544
	ds_load_b64 v[4:5], v92
	ds_load_b64 v[7:8], v6 offset:12096
	global_load_b64 v[22:23], v[2:3], off offset:2176
	s_waitcnt lgkmcnt(0)
	v_dual_sub_f32 v17, v4, v7 :: v_dual_add_f32 v24, v5, v8
	v_sub_f32_e32 v5, v5, v8
	s_delay_alu instid0(VALU_DEP_2) | instskip(NEXT) | instid1(VALU_DEP_3)
	v_dual_add_f32 v7, v4, v7 :: v_dual_mul_f32 v8, 0.5, v17
	v_mul_f32_e32 v17, 0.5, v24
	s_waitcnt vmcnt(6)
	s_delay_alu instid0(VALU_DEP_2) | instskip(NEXT) | instid1(VALU_DEP_1)
	v_dual_mul_f32 v5, 0.5, v5 :: v_dual_mul_f32 v24, v19, v8
	v_fma_f32 v25, v17, v19, v5
	v_fma_f32 v19, v17, v19, -v5
	s_delay_alu instid0(VALU_DEP_3) | instskip(SKIP_1) | instid1(VALU_DEP_4)
	v_fma_f32 v4, 0.5, v7, v24
	v_fma_f32 v7, v7, 0.5, -v24
	v_fma_f32 v5, -v18, v8, v25
	s_delay_alu instid0(VALU_DEP_4) | instskip(NEXT) | instid1(VALU_DEP_4)
	v_fma_f32 v8, -v18, v8, v19
	v_fmac_f32_e32 v4, v18, v17
	s_delay_alu instid0(VALU_DEP_4)
	v_fma_f32 v7, -v18, v17, v7
	ds_store_b64 v92, v[4:5]
	ds_store_b64 v6, v[7:8] offset:12096
	ds_load_b64 v[4:5], v93 offset:4032
	ds_load_b64 v[7:8], v6 offset:11648
	global_load_b64 v[17:18], v[2:3], off offset:2624
	s_waitcnt lgkmcnt(0)
	v_dual_sub_f32 v19, v4, v7 :: v_dual_add_f32 v24, v5, v8
	v_sub_f32_e32 v5, v5, v8
	s_delay_alu instid0(VALU_DEP_2) | instskip(NEXT) | instid1(VALU_DEP_2)
	v_dual_mul_f32 v19, 0.5, v19 :: v_dual_mul_f32 v26, 0.5, v24
	v_mul_f32_e32 v8, 0.5, v5
	v_add_f32_e32 v24, v4, v7
	v_lshlrev_b64 v[4:5], 3, v[58:59]
	s_waitcnt vmcnt(6)
	v_mul_f32_e32 v25, v21, v19
	v_fma_f32 v27, v26, v21, v8
	v_fma_f32 v21, v26, v21, -v8
	s_delay_alu instid0(VALU_DEP_3) | instskip(SKIP_2) | instid1(VALU_DEP_1)
	v_fma_f32 v7, 0.5, v24, v25
	v_fma_f32 v28, v24, 0.5, -v25
	v_add_co_u32 v24, s1, s2, v4
	v_add_co_ci_u32_e64 v25, s1, s3, v5, s1
	v_fma_f32 v8, -v20, v19, v27
	v_fmac_f32_e32 v7, v20, v26
	v_fma_f32 v21, -v20, v19, v21
	global_load_b64 v[24:25], v[24:25], off
	v_fma_f32 v20, -v20, v26, v28
	ds_store_b64 v93, v[7:8] offset:4032
	ds_store_b64 v6, v[20:21] offset:11648
	ds_load_b64 v[7:8], v93 offset:4480
	ds_load_b64 v[19:20], v6 offset:11200
	s_waitcnt lgkmcnt(0)
	v_dual_sub_f32 v21, v7, v19 :: v_dual_add_f32 v26, v8, v20
	v_dual_sub_f32 v8, v8, v20 :: v_dual_add_f32 v19, v7, v19
	s_delay_alu instid0(VALU_DEP_2) | instskip(NEXT) | instid1(VALU_DEP_2)
	v_dual_mul_f32 v20, 0.5, v21 :: v_dual_mul_f32 v21, 0.5, v26
	v_mul_f32_e32 v8, 0.5, v8
	s_waitcnt vmcnt(6)
	s_delay_alu instid0(VALU_DEP_2) | instskip(NEXT) | instid1(VALU_DEP_2)
	v_mul_f32_e32 v26, v10, v20
	v_fma_f32 v27, v21, v10, v8
	v_fma_f32 v10, v21, v10, -v8
	s_delay_alu instid0(VALU_DEP_3) | instskip(SKIP_1) | instid1(VALU_DEP_4)
	v_fma_f32 v7, 0.5, v19, v26
	v_fma_f32 v19, v19, 0.5, -v26
	v_fma_f32 v8, -v9, v20, v27
	s_delay_alu instid0(VALU_DEP_4) | instskip(NEXT) | instid1(VALU_DEP_4)
	v_fma_f32 v10, -v9, v20, v10
	v_fmac_f32_e32 v7, v9, v21
	s_delay_alu instid0(VALU_DEP_4)
	v_fma_f32 v9, -v9, v21, v19
	ds_store_b64 v93, v[7:8] offset:4480
	ds_store_b64 v6, v[9:10] offset:11200
	ds_load_b64 v[7:8], v93 offset:4928
	ds_load_b64 v[9:10], v6 offset:10752
	s_waitcnt lgkmcnt(0)
	v_dual_sub_f32 v19, v7, v9 :: v_dual_add_f32 v20, v8, v10
	v_dual_sub_f32 v8, v8, v10 :: v_dual_add_f32 v9, v7, v9
	s_delay_alu instid0(VALU_DEP_2) | instskip(NEXT) | instid1(VALU_DEP_2)
	v_dual_mul_f32 v10, 0.5, v19 :: v_dual_mul_f32 v19, 0.5, v20
	v_mul_f32_e32 v8, 0.5, v8
	s_waitcnt vmcnt(5)
	s_delay_alu instid0(VALU_DEP_2) | instskip(NEXT) | instid1(VALU_DEP_2)
	v_mul_f32_e32 v20, v12, v10
	v_fma_f32 v21, v19, v12, v8
	v_fma_f32 v12, v19, v12, -v8
	s_delay_alu instid0(VALU_DEP_3) | instskip(SKIP_1) | instid1(VALU_DEP_4)
	v_fma_f32 v7, 0.5, v9, v20
	v_fma_f32 v9, v9, 0.5, -v20
	v_fma_f32 v8, -v11, v10, v21
	s_delay_alu instid0(VALU_DEP_4) | instskip(NEXT) | instid1(VALU_DEP_4)
	v_fma_f32 v10, -v11, v10, v12
	v_fmac_f32_e32 v7, v11, v19
	s_delay_alu instid0(VALU_DEP_4)
	;; [unrolled: 24-line block ×7, first 2 shown]
	v_fma_f32 v9, -v24, v11, v9
	ds_store_b64 v93, v[7:8] offset:7168
	ds_store_b64 v6, v[9:10] offset:8512
	s_and_saveexec_b32 s1, s0
	s_cbranch_execz .LBB0_25
; %bb.24:
	global_load_b64 v[2:3], v[2:3], off offset:3520
	ds_load_b64 v[7:8], v93 offset:7616
	ds_load_b64 v[9:10], v6 offset:8064
	s_waitcnt lgkmcnt(0)
	v_dual_sub_f32 v11, v7, v9 :: v_dual_add_f32 v12, v8, v10
	v_dual_sub_f32 v8, v8, v10 :: v_dual_add_f32 v9, v7, v9
	s_delay_alu instid0(VALU_DEP_2) | instskip(SKIP_1) | instid1(VALU_DEP_1)
	v_dual_mul_f32 v10, 0.5, v11 :: v_dual_mul_f32 v11, 0.5, v12
	s_waitcnt vmcnt(0)
	v_mul_f32_e32 v12, v3, v10
	s_delay_alu instid0(VALU_DEP_1) | instskip(SKIP_2) | instid1(VALU_DEP_3)
	v_fma_f32 v7, 0.5, v9, v12
	v_mul_f32_e32 v8, 0.5, v8
	v_fma_f32 v9, v9, 0.5, -v12
	v_fmac_f32_e32 v7, v2, v11
	s_delay_alu instid0(VALU_DEP_3) | instskip(SKIP_1) | instid1(VALU_DEP_2)
	v_fma_f32 v13, v11, v3, v8
	v_fma_f32 v3, v11, v3, -v8
	v_fma_f32 v8, -v2, v10, v13
	s_delay_alu instid0(VALU_DEP_2)
	v_fma_f32 v3, -v2, v10, v3
	v_fma_f32 v2, -v2, v11, v9
	ds_store_b64 v93, v[7:8] offset:7616
	ds_store_b64 v6, v[2:3] offset:8064
.LBB0_25:
	s_or_b32 exec_lo, exec_lo, s1
	s_waitcnt lgkmcnt(0)
	s_barrier
	buffer_gl0_inv
	s_and_saveexec_b32 s0, vcc_lo
	s_cbranch_execz .LBB0_28
; %bb.26:
	ds_load_2addr_b64 v[6:9], v93 offset1:56
	ds_load_2addr_b64 v[10:13], v93 offset0:112 offset1:168
	v_dual_mov_b32 v51, 0 :: v_dual_add_nc_u32 v14, 0x400, v93
	v_add_nc_u32_e32 v22, 0x800, v93
	v_add_co_u32 v2, vcc_lo, s8, v54
	s_delay_alu instid0(VALU_DEP_3)
	v_dual_mov_b32 v53, v51 :: v_dual_add_nc_u32 v30, 0x1000, v93
	ds_load_2addr_b64 v[14:17], v14 offset0:96 offset1:152
	ds_load_2addr_b64 v[18:21], v22 offset0:80 offset1:136
	v_add_co_ci_u32_e32 v3, vcc_lo, s9, v55, vcc_lo
	ds_load_2addr_b64 v[22:25], v22 offset0:192 offset1:248
	ds_load_2addr_b64 v[26:29], v30 offset0:48 offset1:104
	v_add_co_u32 v0, vcc_lo, v2, v0
	v_add_co_ci_u32_e32 v1, vcc_lo, v3, v1, vcc_lo
	v_add_nc_u32_e32 v31, 0x1800, v93
	s_delay_alu instid0(VALU_DEP_3) | instskip(NEXT) | instid1(VALU_DEP_3)
	v_add_co_u32 v34, vcc_lo, 0x1000, v0
	v_add_co_ci_u32_e32 v35, vcc_lo, 0, v1, vcc_lo
	s_waitcnt lgkmcnt(5)
	s_clause 0x1
	global_store_b64 v[0:1], v[6:7], off
	global_store_b64 v[0:1], v[8:9], off offset:448
	s_waitcnt lgkmcnt(4)
	s_clause 0x1
	global_store_b64 v[0:1], v[10:11], off offset:896
	global_store_b64 v[0:1], v[12:13], off offset:1344
	ds_load_2addr_b64 v[6:9], v30 offset0:160 offset1:216
	ds_load_2addr_b64 v[10:13], v31 offset0:16 offset1:72
	;; [unrolled: 1-line block ×3, first 2 shown]
	v_add_co_u32 v4, vcc_lo, v2, v4
	s_waitcnt lgkmcnt(6)
	s_clause 0x1
	global_store_b64 v[0:1], v[14:15], off offset:1792
	global_store_b64 v[0:1], v[16:17], off offset:2240
	s_waitcnt lgkmcnt(5)
	s_clause 0x1
	global_store_b64 v[0:1], v[18:19], off offset:2688
	global_store_b64 v[0:1], v[20:21], off offset:3136
	v_add_nc_u32_e32 v14, 0x1c00, v93
	v_add_nc_u32_e32 v18, 0x2000, v93
	s_waitcnt lgkmcnt(4)
	s_clause 0x1
	global_store_b64 v[0:1], v[22:23], off offset:3584
	global_store_b64 v[0:1], v[24:25], off offset:4032
	s_waitcnt lgkmcnt(3)
	s_clause 0x1
	global_store_b64 v[34:35], v[26:27], off offset:384
	global_store_b64 v[34:35], v[28:29], off offset:832
	v_add_nc_u32_e32 v22, 0x2400, v93
	v_add_nc_u32_e32 v26, 0x2800, v93
	ds_load_2addr_b64 v[14:17], v14 offset0:112 offset1:168
	ds_load_2addr_b64 v[18:21], v18 offset0:96 offset1:152
	v_add_co_ci_u32_e32 v5, vcc_lo, v3, v5, vcc_lo
	v_add_co_u32 v24, vcc_lo, 0x2000, v0
	v_add_co_ci_u32_e32 v25, vcc_lo, 0, v1, vcc_lo
	s_waitcnt lgkmcnt(4)
	s_clause 0x1
	global_store_b64 v[34:35], v[6:7], off offset:1280
	global_store_b64 v[34:35], v[8:9], off offset:1728
	s_waitcnt lgkmcnt(3)
	s_clause 0x1
	global_store_b64 v[34:35], v[10:11], off offset:2176
	global_store_b64 v[34:35], v[12:13], off offset:2624
	s_waitcnt lgkmcnt(2)
	global_store_b64 v[4:5], v[30:31], off
	ds_load_2addr_b64 v[4:7], v22 offset0:80 offset1:136
	ds_load_2addr_b64 v[8:11], v26 offset0:64 offset1:120
	v_add_nc_u32_e32 v27, 0x3000, v93
	v_lshlrev_b64 v[22:23], 3, v[50:51]
	global_store_b64 v[34:35], v[32:33], off offset:3520
	s_waitcnt lgkmcnt(3)
	s_clause 0x1
	global_store_b64 v[34:35], v[14:15], off offset:3968
	global_store_b64 v[24:25], v[16:17], off offset:320
	s_waitcnt lgkmcnt(2)
	global_store_b64 v[24:25], v[18:19], off offset:768
	ds_load_2addr_b64 v[12:15], v26 offset0:176 offset1:232
	ds_load_2addr_b64 v[16:19], v27 offset0:32 offset1:88
	v_add_co_u32 v22, vcc_lo, v2, v22
	v_add_co_ci_u32_e32 v23, vcc_lo, v3, v23, vcc_lo
	v_add_nc_u32_e32 v26, 0x3800, v93
	v_add_co_u32 v0, vcc_lo, 0x3000, v0
	global_store_b64 v[24:25], v[20:21], off offset:1216
	s_waitcnt lgkmcnt(3)
	s_clause 0x1
	global_store_b64 v[24:25], v[4:5], off offset:1664
	global_store_b64 v[24:25], v[6:7], off offset:2112
	ds_load_2addr_b64 v[4:7], v27 offset0:144 offset1:200
	s_waitcnt lgkmcnt(3)
	global_store_b64 v[22:23], v[8:9], off
	ds_load_2addr_b64 v[20:23], v26 offset1:56
	ds_load_b64 v[8:9], v93 offset:15232
	v_lshlrev_b64 v[26:27], 3, v[52:53]
	v_add_co_ci_u32_e32 v1, vcc_lo, 0, v1, vcc_lo
	global_store_b64 v[24:25], v[10:11], off offset:3008
	s_waitcnt lgkmcnt(4)
	s_clause 0x1
	global_store_b64 v[24:25], v[12:13], off offset:3456
	global_store_b64 v[24:25], v[14:15], off offset:3904
	s_waitcnt lgkmcnt(3)
	global_store_b64 v[0:1], v[16:17], off offset:256
	v_add_co_u32 v10, vcc_lo, v2, v26
	v_add_co_ci_u32_e32 v11, vcc_lo, v3, v27, vcc_lo
	v_cmp_eq_u32_e32 vcc_lo, 55, v48
	global_store_b64 v[0:1], v[18:19], off offset:704
	s_waitcnt lgkmcnt(2)
	s_clause 0x1
	global_store_b64 v[0:1], v[4:5], off offset:1152
	global_store_b64 v[0:1], v[6:7], off offset:1600
	s_waitcnt lgkmcnt(1)
	s_clause 0x1
	global_store_b64 v[10:11], v[20:21], off
	global_store_b64 v[0:1], v[22:23], off offset:2496
	s_waitcnt lgkmcnt(0)
	global_store_b64 v[0:1], v[8:9], off offset:2944
	s_and_b32 exec_lo, exec_lo, vcc_lo
	s_cbranch_execz .LBB0_28
; %bb.27:
	ds_load_b64 v[0:1], v51 offset:15680
	v_add_co_u32 v2, vcc_lo, 0x3000, v2
	v_add_co_ci_u32_e32 v3, vcc_lo, 0, v3, vcc_lo
	s_waitcnt lgkmcnt(0)
	global_store_b64 v[2:3], v[0:1], off offset:3392
.LBB0_28:
	s_nop 0
	s_sendmsg sendmsg(MSG_DEALLOC_VGPRS)
	s_endpgm
	.section	.rodata,"a",@progbits
	.p2align	6, 0x0
	.amdhsa_kernel fft_rtc_back_len1960_factors_4_7_2_7_5_wgs_56_tpt_56_halfLds_sp_ip_CI_unitstride_sbrr_R2C_dirReg
		.amdhsa_group_segment_fixed_size 0
		.amdhsa_private_segment_fixed_size 0
		.amdhsa_kernarg_size 88
		.amdhsa_user_sgpr_count 15
		.amdhsa_user_sgpr_dispatch_ptr 0
		.amdhsa_user_sgpr_queue_ptr 0
		.amdhsa_user_sgpr_kernarg_segment_ptr 1
		.amdhsa_user_sgpr_dispatch_id 0
		.amdhsa_user_sgpr_private_segment_size 0
		.amdhsa_wavefront_size32 1
		.amdhsa_uses_dynamic_stack 0
		.amdhsa_enable_private_segment 0
		.amdhsa_system_sgpr_workgroup_id_x 1
		.amdhsa_system_sgpr_workgroup_id_y 0
		.amdhsa_system_sgpr_workgroup_id_z 0
		.amdhsa_system_sgpr_workgroup_info 0
		.amdhsa_system_vgpr_workitem_id 0
		.amdhsa_next_free_vgpr 161
		.amdhsa_next_free_sgpr 21
		.amdhsa_reserve_vcc 1
		.amdhsa_float_round_mode_32 0
		.amdhsa_float_round_mode_16_64 0
		.amdhsa_float_denorm_mode_32 3
		.amdhsa_float_denorm_mode_16_64 3
		.amdhsa_dx10_clamp 1
		.amdhsa_ieee_mode 1
		.amdhsa_fp16_overflow 0
		.amdhsa_workgroup_processor_mode 1
		.amdhsa_memory_ordered 1
		.amdhsa_forward_progress 0
		.amdhsa_shared_vgpr_count 0
		.amdhsa_exception_fp_ieee_invalid_op 0
		.amdhsa_exception_fp_denorm_src 0
		.amdhsa_exception_fp_ieee_div_zero 0
		.amdhsa_exception_fp_ieee_overflow 0
		.amdhsa_exception_fp_ieee_underflow 0
		.amdhsa_exception_fp_ieee_inexact 0
		.amdhsa_exception_int_div_zero 0
	.end_amdhsa_kernel
	.text
.Lfunc_end0:
	.size	fft_rtc_back_len1960_factors_4_7_2_7_5_wgs_56_tpt_56_halfLds_sp_ip_CI_unitstride_sbrr_R2C_dirReg, .Lfunc_end0-fft_rtc_back_len1960_factors_4_7_2_7_5_wgs_56_tpt_56_halfLds_sp_ip_CI_unitstride_sbrr_R2C_dirReg
                                        ; -- End function
	.section	.AMDGPU.csdata,"",@progbits
; Kernel info:
; codeLenInByte = 22276
; NumSgprs: 23
; NumVgprs: 161
; ScratchSize: 0
; MemoryBound: 0
; FloatMode: 240
; IeeeMode: 1
; LDSByteSize: 0 bytes/workgroup (compile time only)
; SGPRBlocks: 2
; VGPRBlocks: 20
; NumSGPRsForWavesPerEU: 23
; NumVGPRsForWavesPerEU: 161
; Occupancy: 9
; WaveLimiterHint : 1
; COMPUTE_PGM_RSRC2:SCRATCH_EN: 0
; COMPUTE_PGM_RSRC2:USER_SGPR: 15
; COMPUTE_PGM_RSRC2:TRAP_HANDLER: 0
; COMPUTE_PGM_RSRC2:TGID_X_EN: 1
; COMPUTE_PGM_RSRC2:TGID_Y_EN: 0
; COMPUTE_PGM_RSRC2:TGID_Z_EN: 0
; COMPUTE_PGM_RSRC2:TIDIG_COMP_CNT: 0
	.text
	.p2alignl 7, 3214868480
	.fill 96, 4, 3214868480
	.type	__hip_cuid_85699b92ed55aee1,@object ; @__hip_cuid_85699b92ed55aee1
	.section	.bss,"aw",@nobits
	.globl	__hip_cuid_85699b92ed55aee1
__hip_cuid_85699b92ed55aee1:
	.byte	0                               ; 0x0
	.size	__hip_cuid_85699b92ed55aee1, 1

	.ident	"AMD clang version 19.0.0git (https://github.com/RadeonOpenCompute/llvm-project roc-6.4.0 25133 c7fe45cf4b819c5991fe208aaa96edf142730f1d)"
	.section	".note.GNU-stack","",@progbits
	.addrsig
	.addrsig_sym __hip_cuid_85699b92ed55aee1
	.amdgpu_metadata
---
amdhsa.kernels:
  - .args:
      - .actual_access:  read_only
        .address_space:  global
        .offset:         0
        .size:           8
        .value_kind:     global_buffer
      - .offset:         8
        .size:           8
        .value_kind:     by_value
      - .actual_access:  read_only
        .address_space:  global
        .offset:         16
        .size:           8
        .value_kind:     global_buffer
      - .actual_access:  read_only
        .address_space:  global
        .offset:         24
        .size:           8
        .value_kind:     global_buffer
      - .offset:         32
        .size:           8
        .value_kind:     by_value
      - .actual_access:  read_only
        .address_space:  global
        .offset:         40
        .size:           8
        .value_kind:     global_buffer
      - .actual_access:  read_only
        .address_space:  global
        .offset:         48
        .size:           8
        .value_kind:     global_buffer
      - .offset:         56
        .size:           4
        .value_kind:     by_value
      - .actual_access:  read_only
        .address_space:  global
        .offset:         64
        .size:           8
        .value_kind:     global_buffer
      - .actual_access:  read_only
        .address_space:  global
        .offset:         72
        .size:           8
        .value_kind:     global_buffer
      - .address_space:  global
        .offset:         80
        .size:           8
        .value_kind:     global_buffer
    .group_segment_fixed_size: 0
    .kernarg_segment_align: 8
    .kernarg_segment_size: 88
    .language:       OpenCL C
    .language_version:
      - 2
      - 0
    .max_flat_workgroup_size: 56
    .name:           fft_rtc_back_len1960_factors_4_7_2_7_5_wgs_56_tpt_56_halfLds_sp_ip_CI_unitstride_sbrr_R2C_dirReg
    .private_segment_fixed_size: 0
    .sgpr_count:     23
    .sgpr_spill_count: 0
    .symbol:         fft_rtc_back_len1960_factors_4_7_2_7_5_wgs_56_tpt_56_halfLds_sp_ip_CI_unitstride_sbrr_R2C_dirReg.kd
    .uniform_work_group_size: 1
    .uses_dynamic_stack: false
    .vgpr_count:     161
    .vgpr_spill_count: 0
    .wavefront_size: 32
    .workgroup_processor_mode: 1
amdhsa.target:   amdgcn-amd-amdhsa--gfx1100
amdhsa.version:
  - 1
  - 2
...

	.end_amdgpu_metadata
